;; amdgpu-corpus repo=ROCm/rocFFT kind=compiled arch=gfx950 opt=O3
	.text
	.amdgcn_target "amdgcn-amd-amdhsa--gfx950"
	.amdhsa_code_object_version 6
	.protected	fft_rtc_fwd_len112_factors_4_4_7_wgs_133_tpt_7_dim2_sp_ip_CI_sbcc_twdbase8_3step_dirReg ; -- Begin function fft_rtc_fwd_len112_factors_4_4_7_wgs_133_tpt_7_dim2_sp_ip_CI_sbcc_twdbase8_3step_dirReg
	.globl	fft_rtc_fwd_len112_factors_4_4_7_wgs_133_tpt_7_dim2_sp_ip_CI_sbcc_twdbase8_3step_dirReg
	.p2align	8
	.type	fft_rtc_fwd_len112_factors_4_4_7_wgs_133_tpt_7_dim2_sp_ip_CI_sbcc_twdbase8_3step_dirReg,@function
fft_rtc_fwd_len112_factors_4_4_7_wgs_133_tpt_7_dim2_sp_ip_CI_sbcc_twdbase8_3step_dirReg: ; @fft_rtc_fwd_len112_factors_4_4_7_wgs_133_tpt_7_dim2_sp_ip_CI_sbcc_twdbase8_3step_dirReg
; %bb.0:
	s_load_dwordx4 s[4:7], s[0:1], 0x10
	s_mov_b32 s3, 0
	s_mov_b64 s[16:17], -1
	s_waitcnt lgkmcnt(0)
	s_load_dwordx2 s[12:13], s[4:5], 0x8
	s_load_dwordx2 s[10:11], s[0:1], 0x50
	;; [unrolled: 1-line block ×3, first 2 shown]
	s_waitcnt lgkmcnt(0)
	s_add_u32 s4, s12, -1
	s_addc_u32 s5, s13, -1
	s_add_u32 s14, 0, 0x50d6f500
	s_addc_u32 s15, 0, 46
	s_add_i32 s15, s15, 0xd794330
	s_mul_hi_u32 s21, s14, 0xffffffed
	s_sub_i32 s21, s21, s14
	s_mul_i32 s22, s15, 0xffffffed
	s_mul_i32 s18, s14, 0xffffffed
	s_add_i32 s21, s21, s22
	s_mul_hi_u32 s19, s15, s18
	s_mul_i32 s20, s15, s18
	s_mul_i32 s23, s14, s21
	s_mul_hi_u32 s18, s14, s18
	s_mul_hi_u32 s22, s14, s21
	s_add_u32 s18, s18, s23
	s_addc_u32 s22, 0, s22
	s_add_u32 s18, s18, s20
	s_mul_hi_u32 s23, s15, s21
	s_addc_u32 s18, s22, s19
	s_addc_u32 s19, s23, 0
	s_mul_i32 s20, s15, s21
	s_add_u32 s18, s18, s20
	v_mov_b32_e32 v1, s18
	s_addc_u32 s19, 0, s19
	v_add_co_u32_e32 v1, vcc, s14, v1
	s_cmp_lg_u64 vcc, 0
	s_addc_u32 s14, s15, s19
	v_readfirstlane_b32 s19, v1
	s_mul_i32 s18, s4, s14
	s_mul_hi_u32 s20, s4, s19
	s_mul_hi_u32 s15, s4, s14
	s_add_u32 s18, s20, s18
	s_addc_u32 s15, 0, s15
	s_mul_hi_u32 s21, s5, s19
	s_mul_i32 s19, s5, s19
	s_add_u32 s18, s18, s19
	s_mul_hi_u32 s20, s5, s14
	s_addc_u32 s15, s15, s21
	s_addc_u32 s18, s20, 0
	s_mul_i32 s14, s5, s14
	s_add_u32 s14, s15, s14
	s_addc_u32 s15, 0, s18
	s_add_u32 s18, s14, 1
	s_addc_u32 s19, s15, 0
	s_add_u32 s20, s14, 2
	s_mul_i32 s22, s15, 19
	s_mul_hi_u32 s23, s14, 19
	s_addc_u32 s21, s15, 0
	s_add_i32 s23, s23, s22
	s_mul_i32 s22, s14, 19
	v_mov_b32_e32 v1, s22
	v_sub_co_u32_e32 v1, vcc, s4, v1
	s_cmp_lg_u64 vcc, 0
	s_subb_u32 s4, s5, s23
	v_subrev_co_u32_e32 v2, vcc, 19, v1
	s_cmp_lg_u64 vcc, 0
	s_subb_u32 s5, s4, 0
	v_readfirstlane_b32 s22, v2
	s_cmp_gt_u32 s22, 18
	s_cselect_b32 s22, -1, 0
	s_cmp_eq_u32 s5, 0
	s_cselect_b32 s5, s22, -1
	s_cmp_lg_u32 s5, 0
	s_cselect_b32 s5, s20, s18
	s_cselect_b32 s18, s21, s19
	v_readfirstlane_b32 s19, v1
	s_cmp_gt_u32 s19, 18
	s_cselect_b32 s19, -1, 0
	s_cmp_eq_u32 s4, 0
	s_cselect_b32 s4, s19, -1
	s_cmp_lg_u32 s4, 0
	s_cselect_b32 s4, s5, s14
	s_cselect_b32 s15, s18, s15
	s_add_u32 s4, s4, 1
	s_addc_u32 s5, s15, 0
	v_mov_b64_e32 v[2:3], s[4:5]
	v_cmp_lt_u64_e32 vcc, s[2:3], v[2:3]
	s_mov_b64 s[18:19], 0
	s_cbranch_vccnz .LBB0_2
; %bb.1:
	v_cvt_f32_u32_e32 v1, s4
	s_sub_i32 s3, 0, s4
	v_rcp_iflag_f32_e32 v1, v1
	s_nop 0
	v_mul_f32_e32 v1, 0x4f7ffffe, v1
	v_cvt_u32_f32_e32 v1, v1
	s_nop 0
	v_readfirstlane_b32 s14, v1
	s_mul_i32 s3, s3, s14
	s_mul_hi_u32 s3, s14, s3
	s_add_i32 s14, s14, s3
	s_mul_hi_u32 s3, s2, s14
	s_mul_i32 s15, s3, s4
	s_sub_i32 s15, s2, s15
	s_add_i32 s14, s3, 1
	s_sub_i32 s18, s15, s4
	s_cmp_ge_u32 s15, s4
	s_cselect_b32 s3, s14, s3
	s_cselect_b32 s15, s18, s15
	s_add_i32 s14, s3, 1
	s_cmp_ge_u32 s15, s4
	s_cselect_b32 s18, s14, s3
.LBB0_2:
	s_mul_i32 s3, s18, s5
	s_mul_hi_u32 s5, s18, s4
	s_add_i32 s5, s5, s3
	s_mul_i32 s3, s18, s4
	s_sub_u32 s2, s2, s3
	s_subb_u32 s3, 0, s5
	s_load_dwordx4 s[4:7], s[6:7], 0x8
	s_mul_i32 s19, s3, 19
	s_mul_hi_u32 s3, s2, 19
	s_mul_i32 s21, s2, 19
	s_add_i32 s20, s3, s19
	s_waitcnt lgkmcnt(0)
	s_mul_i32 s22, s21, s5
	s_mul_hi_u32 s23, s21, s4
	s_mul_i32 s3, s20, s4
	s_add_i32 s22, s23, s22
	s_mul_i32 s7, s7, s18
	s_mul_hi_u32 s23, s6, s18
	v_mul_u32_u24_e32 v1, 0xd7a, v0
	s_add_i32 s22, s22, s3
	s_mul_i32 s3, s21, s4
	s_add_i32 s23, s23, s7
	s_mul_i32 s6, s6, s18
	v_lshrrev_b32_e32 v31, 16, v1
	s_add_u32 s6, s6, s3
	v_mul_lo_u16_e32 v1, 19, v31
	s_load_dwordx2 s[14:15], s[0:1], 0x0
	s_addc_u32 s7, s23, s22
	v_sub_u16_e32 v26, v0, v1
	v_mov_b32_e32 v27, 0
	v_mad_u64_u32 v[28:29], s[2:3], s2, 19, v[26:27]
	s_add_u32 s18, s21, 19
	v_add_u32_e32 v29, s19, v29
	s_addc_u32 s19, s20, 0
	v_mov_b64_e32 v[2:3], s[12:13]
	v_cmp_gt_u64_e32 vcc, s[18:19], v[2:3]
	v_cmp_le_u64_e64 s[2:3], s[18:19], v[2:3]
	v_add_u32_e32 v40, 7, v31
	v_add_u32_e32 v41, 14, v31
	;; [unrolled: 1-line block ×3, first 2 shown]
	s_cbranch_vccnz .LBB0_4
; %bb.3:
	v_mad_u64_u32 v[2:3], s[16:17], s4, v26, 0
	v_mov_b32_e32 v4, v3
	v_mad_u64_u32 v[4:5], s[16:17], s5, v26, v[4:5]
	v_mov_b32_e32 v3, v4
	;; [unrolled: 2-line block ×3, first 2 shown]
	v_mad_u64_u32 v[6:7], s[16:17], s9, v31, v[6:7]
	s_lshl_b64 s[16:17], s[6:7], 3
	s_add_u32 s16, s10, s16
	s_addc_u32 s17, s11, s17
	v_add_u32_e32 v1, 28, v31
	v_mov_b32_e32 v5, v6
	v_lshl_add_u64 v[32:33], v[2:3], 3, s[16:17]
	v_mad_u64_u32 v[2:3], s[16:17], s8, v1, 0
	v_lshl_add_u64 v[10:11], v[4:5], 3, v[32:33]
	v_mov_b32_e32 v4, v3
	v_mad_u64_u32 v[4:5], s[16:17], s9, v1, v[4:5]
	v_mov_b32_e32 v3, v4
	v_add_u32_e32 v1, 56, v31
	v_lshl_add_u64 v[12:13], v[2:3], 3, v[32:33]
	v_mad_u64_u32 v[2:3], s[16:17], s8, v1, 0
	v_mov_b32_e32 v4, v3
	v_mad_u64_u32 v[4:5], s[16:17], s9, v1, v[4:5]
	v_mov_b32_e32 v3, v4
	v_add_u32_e32 v1, 0x54, v31
	v_lshl_add_u64 v[14:15], v[2:3], 3, v[32:33]
	v_mad_u64_u32 v[2:3], s[16:17], s8, v1, 0
	v_mov_b32_e32 v4, v3
	v_mad_u64_u32 v[4:5], s[16:17], s9, v1, v[4:5]
	v_mov_b32_e32 v3, v4
	v_add_u32_e32 v30, 7, v31
	v_lshl_add_u64 v[16:17], v[2:3], 3, v[32:33]
	global_load_dwordx2 v[4:5], v[10:11], off
	global_load_dwordx2 v[2:3], v[12:13], off
	global_load_dwordx2 v[8:9], v[14:15], off
	global_load_dwordx2 v[6:7], v[16:17], off
	v_mad_u64_u32 v[10:11], s[16:17], s8, v30, 0
	v_mov_b32_e32 v12, v11
	v_mad_u64_u32 v[12:13], s[16:17], s9, v30, v[12:13]
	v_mov_b32_e32 v11, v12
	v_add_u32_e32 v1, 35, v31
	v_lshl_add_u64 v[18:19], v[10:11], 3, v[32:33]
	v_mad_u64_u32 v[10:11], s[16:17], s8, v1, 0
	v_mov_b32_e32 v12, v11
	v_mad_u64_u32 v[12:13], s[16:17], s9, v1, v[12:13]
	v_mov_b32_e32 v11, v12
	v_add_u32_e32 v1, 63, v31
	v_lshl_add_u64 v[20:21], v[10:11], 3, v[32:33]
	v_mad_u64_u32 v[10:11], s[16:17], s8, v1, 0
	v_mov_b32_e32 v12, v11
	v_mad_u64_u32 v[12:13], s[16:17], s9, v1, v[12:13]
	v_mov_b32_e32 v11, v12
	v_add_u32_e32 v1, 0x5b, v31
	v_lshl_add_u64 v[22:23], v[10:11], 3, v[32:33]
	v_mad_u64_u32 v[10:11], s[16:17], s8, v1, 0
	v_mov_b32_e32 v12, v11
	v_mad_u64_u32 v[12:13], s[16:17], s9, v1, v[12:13]
	v_mov_b32_e32 v11, v12
	v_add_u32_e32 v27, 14, v31
	v_lshl_add_u64 v[24:25], v[10:11], 3, v[32:33]
	global_load_dwordx2 v[12:13], v[18:19], off
	global_load_dwordx2 v[10:11], v[20:21], off
	global_load_dwordx2 v[16:17], v[22:23], off
	global_load_dwordx2 v[14:15], v[24:25], off
	v_mad_u64_u32 v[18:19], s[16:17], s8, v27, 0
	v_mov_b32_e32 v20, v19
	v_mad_u64_u32 v[20:21], s[16:17], s9, v27, v[20:21]
	v_mov_b32_e32 v19, v20
	v_add_u32_e32 v1, 42, v31
	v_lshl_add_u64 v[34:35], v[18:19], 3, v[32:33]
	v_mad_u64_u32 v[18:19], s[16:17], s8, v1, 0
	;; [unrolled: 28-line block ×3, first 2 shown]
	v_mov_b32_e32 v36, v35
	v_mad_u64_u32 v[36:37], s[16:17], s9, v37, v[36:37]
	v_mov_b32_e32 v35, v36
	v_add_u32_e32 v37, 0x4d, v31
	v_lshl_add_u64 v[46:47], v[34:35], 3, v[32:33]
	v_mad_u64_u32 v[34:35], s[16:17], s8, v37, 0
	v_mov_b32_e32 v36, v35
	v_mad_u64_u32 v[36:37], s[16:17], s9, v37, v[36:37]
	v_mov_b32_e32 v35, v36
	v_add_u32_e32 v37, 0x69, v31
	v_lshl_add_u64 v[48:49], v[34:35], 3, v[32:33]
	v_mad_u64_u32 v[34:35], s[16:17], s8, v37, 0
	v_mov_b32_e32 v36, v35
	v_mad_u64_u32 v[36:37], s[16:17], s9, v37, v[36:37]
	v_mov_b32_e32 v35, v36
	v_lshl_add_u64 v[50:51], v[34:35], 3, v[32:33]
	global_load_dwordx2 v[34:35], v[44:45], off
	global_load_dwordx2 v[32:33], v[46:47], off
	;; [unrolled: 1-line block ×4, first 2 shown]
	s_cbranch_execz .LBB0_5
	s_branch .LBB0_10
.LBB0_4:
                                        ; implicit-def: $vgpr7
                                        ; implicit-def: $vgpr3
                                        ; implicit-def: $vgpr9
                                        ; implicit-def: $vgpr5
                                        ; implicit-def: $vgpr15
                                        ; implicit-def: $vgpr11
                                        ; implicit-def: $vgpr17
                                        ; implicit-def: $vgpr13
                                        ; implicit-def: $vgpr23
                                        ; implicit-def: $vgpr19
                                        ; implicit-def: $vgpr25
                                        ; implicit-def: $vgpr21
                                        ; implicit-def: $vgpr37
                                        ; implicit-def: $vgpr33
                                        ; implicit-def: $vgpr39
                                        ; implicit-def: $vgpr35
                                        ; implicit-def: $vgpr30
                                        ; implicit-def: $vgpr27
                                        ; implicit-def: $vgpr1
	s_andn2_b64 vcc, exec, s[16:17]
	s_cbranch_vccnz .LBB0_10
.LBB0_5:
	v_cmp_le_u64_e32 vcc, s[12:13], v[28:29]
                                        ; implicit-def: $vgpr30
                                        ; implicit-def: $vgpr27
                                        ; implicit-def: $vgpr1
	s_and_saveexec_b64 s[16:17], vcc
	s_xor_b64 s[16:17], exec, s[16:17]
; %bb.6:
	v_add_u32_e32 v30, 7, v31
	v_add_u32_e32 v27, 14, v31
	;; [unrolled: 1-line block ×3, first 2 shown]
                                        ; implicit-def: $vgpr40
                                        ; implicit-def: $vgpr41
                                        ; implicit-def: $vgpr42
; %bb.7:
	s_or_saveexec_b64 s[16:17], s[16:17]
                                        ; implicit-def: $vgpr7
                                        ; implicit-def: $vgpr3
                                        ; implicit-def: $vgpr9
                                        ; implicit-def: $vgpr5
                                        ; implicit-def: $vgpr15
                                        ; implicit-def: $vgpr11
                                        ; implicit-def: $vgpr17
                                        ; implicit-def: $vgpr13
                                        ; implicit-def: $vgpr23
                                        ; implicit-def: $vgpr19
                                        ; implicit-def: $vgpr25
                                        ; implicit-def: $vgpr21
                                        ; implicit-def: $vgpr37
                                        ; implicit-def: $vgpr33
                                        ; implicit-def: $vgpr39
                                        ; implicit-def: $vgpr35
	s_xor_b64 exec, exec, s[16:17]
	s_cbranch_execz .LBB0_9
; %bb.8:
	s_waitcnt vmcnt(14)
	v_mad_u64_u32 v[2:3], s[18:19], s4, v26, 0
	v_mov_b32_e32 v4, v3
	v_mad_u64_u32 v[4:5], s[18:19], s5, v26, v[4:5]
	v_mov_b32_e32 v3, v4
	v_mad_u64_u32 v[4:5], s[18:19], s8, v31, 0
	s_waitcnt vmcnt(12)
	v_mov_b32_e32 v6, v5
	v_mad_u64_u32 v[6:7], s[18:19], s9, v31, v[6:7]
	s_lshl_b64 s[18:19], s[6:7], 3
	s_add_u32 s18, s10, s18
	s_addc_u32 s19, s11, s19
	v_add_u32_e32 v1, 28, v31
	v_mov_b32_e32 v5, v6
	s_waitcnt vmcnt(2)
	v_lshl_add_u64 v[32:33], v[2:3], 3, s[18:19]
	v_mad_u64_u32 v[2:3], s[18:19], s8, v1, 0
	v_lshl_add_u64 v[10:11], v[4:5], 3, v[32:33]
	v_mov_b32_e32 v4, v3
	v_mad_u64_u32 v[4:5], s[18:19], s9, v1, v[4:5]
	v_mov_b32_e32 v3, v4
	v_add_u32_e32 v1, 56, v31
	v_lshl_add_u64 v[12:13], v[2:3], 3, v[32:33]
	v_mad_u64_u32 v[2:3], s[18:19], s8, v1, 0
	v_mov_b32_e32 v4, v3
	v_mad_u64_u32 v[4:5], s[18:19], s9, v1, v[4:5]
	v_mov_b32_e32 v3, v4
	v_add_u32_e32 v1, 0x54, v31
	v_lshl_add_u64 v[14:15], v[2:3], 3, v[32:33]
	v_mad_u64_u32 v[2:3], s[18:19], s8, v1, 0
	v_mov_b32_e32 v4, v3
	v_mad_u64_u32 v[4:5], s[18:19], s9, v1, v[4:5]
	v_mov_b32_e32 v3, v4
	v_lshl_add_u64 v[16:17], v[2:3], 3, v[32:33]
	global_load_dwordx2 v[4:5], v[10:11], off
	global_load_dwordx2 v[2:3], v[12:13], off
	;; [unrolled: 1-line block ×4, first 2 shown]
	v_mad_u64_u32 v[10:11], s[18:19], s8, v40, 0
	v_mov_b32_e32 v12, v11
	v_mad_u64_u32 v[12:13], s[18:19], s9, v40, v[12:13]
	v_mov_b32_e32 v11, v12
	v_add_u32_e32 v1, 35, v31
	v_lshl_add_u64 v[18:19], v[10:11], 3, v[32:33]
	v_mad_u64_u32 v[10:11], s[18:19], s8, v1, 0
	v_mov_b32_e32 v12, v11
	v_mad_u64_u32 v[12:13], s[18:19], s9, v1, v[12:13]
	v_mov_b32_e32 v11, v12
	v_add_u32_e32 v1, 63, v31
	v_lshl_add_u64 v[20:21], v[10:11], 3, v[32:33]
	v_mad_u64_u32 v[10:11], s[18:19], s8, v1, 0
	v_mov_b32_e32 v12, v11
	v_mad_u64_u32 v[12:13], s[18:19], s9, v1, v[12:13]
	v_mov_b32_e32 v11, v12
	v_add_u32_e32 v1, 0x5b, v31
	v_lshl_add_u64 v[22:23], v[10:11], 3, v[32:33]
	v_mad_u64_u32 v[10:11], s[18:19], s8, v1, 0
	v_mov_b32_e32 v12, v11
	v_mad_u64_u32 v[12:13], s[18:19], s9, v1, v[12:13]
	v_mov_b32_e32 v11, v12
	v_lshl_add_u64 v[24:25], v[10:11], 3, v[32:33]
	global_load_dwordx2 v[12:13], v[18:19], off
	global_load_dwordx2 v[10:11], v[20:21], off
	;; [unrolled: 1-line block ×4, first 2 shown]
	v_mad_u64_u32 v[18:19], s[18:19], s8, v41, 0
	v_mov_b32_e32 v20, v19
	v_mad_u64_u32 v[20:21], s[18:19], s9, v41, v[20:21]
	v_mov_b32_e32 v19, v20
	v_add_u32_e32 v1, 42, v31
	v_lshl_add_u64 v[34:35], v[18:19], 3, v[32:33]
	v_mad_u64_u32 v[18:19], s[18:19], s8, v1, 0
	v_mov_b32_e32 v20, v19
	v_mad_u64_u32 v[20:21], s[18:19], s9, v1, v[20:21]
	v_mov_b32_e32 v19, v20
	v_add_u32_e32 v1, 0x46, v31
	s_waitcnt vmcnt(8)
	v_lshl_add_u64 v[36:37], v[18:19], 3, v[32:33]
	v_mad_u64_u32 v[18:19], s[18:19], s8, v1, 0
	v_mov_b32_e32 v20, v19
	v_mad_u64_u32 v[20:21], s[18:19], s9, v1, v[20:21]
	v_mov_b32_e32 v19, v20
	v_add_u32_e32 v1, 0x62, v31
	v_lshl_add_u64 v[38:39], v[18:19], 3, v[32:33]
	v_mad_u64_u32 v[18:19], s[18:19], s8, v1, 0
	v_mov_b32_e32 v20, v19
	v_mad_u64_u32 v[20:21], s[18:19], s9, v1, v[20:21]
	v_mov_b32_e32 v19, v20
	v_lshl_add_u64 v[44:45], v[18:19], 3, v[32:33]
	global_load_dwordx2 v[20:21], v[34:35], off
	global_load_dwordx2 v[18:19], v[36:37], off
	;; [unrolled: 1-line block ×4, first 2 shown]
	v_mad_u64_u32 v[34:35], s[18:19], s8, v42, 0
	v_mov_b32_e32 v30, v35
	v_mad_u64_u32 v[36:37], s[18:19], s9, v42, v[30:31]
	v_mov_b32_e32 v35, v36
	v_add_u32_e32 v1, 49, v31
	v_lshl_add_u64 v[44:45], v[34:35], 3, v[32:33]
	v_mad_u64_u32 v[34:35], s[18:19], s8, v1, 0
	v_mov_b32_e32 v30, v35
	v_mad_u64_u32 v[36:37], s[18:19], s9, v1, v[30:31]
	v_mov_b32_e32 v35, v36
	v_add_u32_e32 v1, 0x4d, v31
	v_lshl_add_u64 v[46:47], v[34:35], 3, v[32:33]
	;; [unrolled: 6-line block ×3, first 2 shown]
	v_mad_u64_u32 v[34:35], s[18:19], s8, v1, 0
	v_mov_b32_e32 v30, v35
	v_mad_u64_u32 v[36:37], s[18:19], s9, v1, v[30:31]
	v_mov_b32_e32 v35, v36
	v_lshl_add_u64 v[50:51], v[34:35], 3, v[32:33]
	global_load_dwordx2 v[34:35], v[44:45], off
	global_load_dwordx2 v[32:33], v[46:47], off
	;; [unrolled: 1-line block ×4, first 2 shown]
	v_mov_b32_e32 v30, v40
	v_mov_b32_e32 v27, v41
	;; [unrolled: 1-line block ×3, first 2 shown]
.LBB0_9:
	s_or_b64 exec, exec, s[16:17]
.LBB0_10:
	s_waitcnt vmcnt(13)
	v_pk_add_f32 v[8:9], v[4:5], v[8:9] neg_lo:[0,1] neg_hi:[0,1]
	s_waitcnt vmcnt(12)
	v_pk_add_f32 v[6:7], v[2:3], v[6:7] neg_lo:[0,1] neg_hi:[0,1]
	v_mul_u32_u24_e32 v40, 0x260, v31
	v_lshlrev_b32_e32 v48, 3, v26
	v_add3_u32 v46, 0, v40, v48
	v_pk_fma_f32 v[4:5], v[4:5], 2.0, v[8:9] op_sel_hi:[1,0,1] neg_lo:[0,0,1] neg_hi:[0,0,1]
	v_pk_fma_f32 v[2:3], v[2:3], 2.0, v[6:7] op_sel_hi:[1,0,1] neg_lo:[0,0,1] neg_hi:[0,0,1]
	v_pk_add_f32 v[40:41], v[8:9], v[6:7] op_sel:[0,1] op_sel_hi:[1,0] neg_lo:[0,1] neg_hi:[0,1]
	v_pk_add_f32 v[6:7], v[8:9], v[6:7] op_sel:[0,1] op_sel_hi:[1,0]
	v_pk_add_f32 v[2:3], v[4:5], v[2:3] neg_lo:[0,1] neg_hi:[0,1]
	v_mov_b32_e32 v41, v7
	v_pk_fma_f32 v[4:5], v[4:5], 2.0, v[2:3] op_sel_hi:[1,0,1] neg_lo:[0,0,1] neg_hi:[0,0,1]
	v_pk_fma_f32 v[6:7], v[8:9], 2.0, v[40:41] op_sel_hi:[1,0,1] neg_lo:[0,0,1] neg_hi:[0,0,1]
	s_waitcnt vmcnt(9)
	v_pk_add_f32 v[16:17], v[12:13], v[16:17] neg_lo:[0,1] neg_hi:[0,1]
	s_waitcnt vmcnt(8)
	v_pk_add_f32 v[14:15], v[10:11], v[14:15] neg_lo:[0,1] neg_hi:[0,1]
	ds_write2_b64 v46, v[4:5], v[6:7] offset1:19
	ds_write2_b64 v46, v[2:3], v[40:41] offset0:38 offset1:57
	v_mul_i32_i24_e32 v2, 0x260, v30
	v_add3_u32 v58, 0, v2, v48
	v_pk_fma_f32 v[2:3], v[12:13], 2.0, v[16:17] op_sel_hi:[1,0,1] neg_lo:[0,0,1] neg_hi:[0,0,1]
	v_pk_fma_f32 v[4:5], v[10:11], 2.0, v[14:15] op_sel_hi:[1,0,1] neg_lo:[0,0,1] neg_hi:[0,0,1]
	v_pk_add_f32 v[6:7], v[16:17], v[14:15] op_sel:[0,1] op_sel_hi:[1,0] neg_lo:[0,1] neg_hi:[0,1]
	v_pk_add_f32 v[8:9], v[16:17], v[14:15] op_sel:[0,1] op_sel_hi:[1,0]
	v_pk_add_f32 v[4:5], v[2:3], v[4:5] neg_lo:[0,1] neg_hi:[0,1]
	v_mov_b32_e32 v7, v9
	v_pk_fma_f32 v[2:3], v[2:3], 2.0, v[4:5] op_sel_hi:[1,0,1] neg_lo:[0,0,1] neg_hi:[0,0,1]
	v_pk_fma_f32 v[8:9], v[16:17], 2.0, v[6:7] op_sel_hi:[1,0,1] neg_lo:[0,0,1] neg_hi:[0,0,1]
	s_waitcnt vmcnt(5)
	v_pk_add_f32 v[24:25], v[20:21], v[24:25] neg_lo:[0,1] neg_hi:[0,1]
	s_waitcnt vmcnt(4)
	v_pk_add_f32 v[22:23], v[18:19], v[22:23] neg_lo:[0,1] neg_hi:[0,1]
	ds_write2_b64 v58, v[2:3], v[8:9] offset1:19
	ds_write2_b64 v58, v[4:5], v[6:7] offset0:38 offset1:57
	v_mul_i32_i24_e32 v2, 0x260, v27
	;; [unrolled: 16-line block ×3, first 2 shown]
	v_add3_u32 v60, 0, v2, v48
	v_pk_fma_f32 v[2:3], v[34:35], 2.0, v[38:39] op_sel_hi:[1,0,1] neg_lo:[0,0,1] neg_hi:[0,0,1]
	v_pk_fma_f32 v[4:5], v[32:33], 2.0, v[36:37] op_sel_hi:[1,0,1] neg_lo:[0,0,1] neg_hi:[0,0,1]
	v_pk_add_f32 v[6:7], v[38:39], v[36:37] op_sel:[0,1] op_sel_hi:[1,0] neg_lo:[0,1] neg_hi:[0,1]
	v_pk_add_f32 v[8:9], v[38:39], v[36:37] op_sel:[0,1] op_sel_hi:[1,0]
	v_pk_add_f32 v[4:5], v[2:3], v[4:5] neg_lo:[0,1] neg_hi:[0,1]
	v_mov_b32_e32 v7, v9
	v_pk_fma_f32 v[2:3], v[2:3], 2.0, v[4:5] op_sel_hi:[1,0,1] neg_lo:[0,0,1] neg_hi:[0,0,1]
	v_pk_fma_f32 v[8:9], v[38:39], 2.0, v[6:7] op_sel_hi:[1,0,1] neg_lo:[0,0,1] neg_hi:[0,0,1]
	v_and_b32_e32 v61, 3, v1
	ds_write2_b64 v60, v[2:3], v[8:9] offset1:19
	ds_write2_b64 v60, v[4:5], v[6:7] offset0:38 offset1:57
	v_mul_u32_u24_e32 v2, 3, v61
	v_lshlrev_b32_e32 v18, 3, v2
	s_waitcnt lgkmcnt(0)
	s_barrier
	global_load_dwordx4 v[2:5], v18, s[14:15]
	v_and_b32_e32 v62, 3, v27
	v_mul_u32_u24_e32 v6, 3, v62
	v_lshlrev_b32_e32 v19, 3, v6
	global_load_dwordx4 v[6:9], v19, s[14:15]
	v_and_b32_e32 v63, 3, v30
	v_mul_u32_u24_e32 v10, 3, v63
	v_lshlrev_b32_e32 v20, 3, v10
	global_load_dwordx4 v[10:13], v20, s[14:15]
	v_and_b32_e32 v14, 3, v31
	v_mul_u32_u24_e32 v14, 3, v14
	s_movk_i32 s16, 0xfe38
	v_lshlrev_b32_e32 v54, 3, v14
	v_mad_i32_i24 v49, v31, s16, v46
	global_load_dwordx4 v[14:17], v54, s[14:15]
	global_load_dwordx2 v[40:41], v18, s[14:15] offset:16
	global_load_dwordx2 v[42:43], v19, s[14:15] offset:16
	;; [unrolled: 1-line block ×3, first 2 shown]
	v_add_u32_e32 v18, 0x1800, v49
	ds_read2_b64 v[18:21], v18 offset0:30 offset1:163
	v_add_u32_e32 v64, 0x1000, v49
	v_add_u32_e32 v32, 0x2000, v49
	;; [unrolled: 1-line block ×3, first 2 shown]
	ds_read2_b64 v[22:25], v64 offset0:20 offset1:153
	ds_read2_b64 v[32:35], v32 offset0:40 offset1:173
	v_add_u32_e32 v65, 0x3800, v49
	v_cmp_lt_u32_e32 vcc, 37, v0
	s_waitcnt vmcnt(6)
	v_mov_b32_e32 v36, v3
	s_waitcnt lgkmcnt(2)
	v_pk_mul_f32 v[36:37], v[20:21], v[36:37] op_sel:[1,0] op_sel_hi:[0,1]
	v_pk_fma_f32 v[46:47], v[20:21], v[2:3], v[36:37] neg_lo:[0,0,1] neg_hi:[0,0,1]
	ds_read2_b64 v[36:39], v38 offset0:50 offset1:183
	v_pk_mul_f32 v[50:51], v[20:21], v[2:3] op_sel:[1,0] op_sel_hi:[0,1]
	v_mov_b32_e32 v47, v50
	v_pk_fma_f32 v[20:21], v[20:21], v[2:3], v[46:47] op_sel:[1,0,0] op_sel_hi:[0,1,1]
	v_mov_b32_e32 v2, v5
	s_waitcnt lgkmcnt(0)
	v_pk_mul_f32 v[2:3], v[38:39], v[2:3] op_sel:[1,0] op_sel_hi:[0,1]
	v_pk_fma_f32 v[50:51], v[38:39], v[4:5], v[2:3] neg_lo:[0,0,1] neg_hi:[0,0,1]
	v_pk_mul_f32 v[2:3], v[38:39], v[4:5] op_sel:[1,0] op_sel_hi:[0,1]
	v_mov_b32_e32 v3, v2
	v_pk_fma_f32 v[38:39], v[38:39], v[4:5], v[2:3] op_sel:[1,0,0] op_sel_hi:[0,1,1]
	s_waitcnt vmcnt(5)
	v_pk_mul_f32 v[2:3], v[18:19], v[6:7] op_sel:[0,1]
	v_mov_b32_e32 v51, v39
	v_pk_fma_f32 v[52:53], v[18:19], v[6:7], v[2:3] op_sel:[0,0,1] op_sel_hi:[1,1,0] neg_lo:[0,0,1] neg_hi:[0,0,1]
	v_pk_fma_f32 v[6:7], v[18:19], v[6:7], v[2:3] op_sel:[0,0,1] op_sel_hi:[1,0,0]
	global_load_dwordx2 v[18:19], v54, s[14:15] offset:16
	v_mov_b32_e32 v2, v9
	v_pk_mul_f32 v[2:3], v[36:37], v[2:3] op_sel_hi:[1,0]
	s_waitcnt vmcnt(3)
	v_mov_b32_e32 v6, v41
	v_pk_fma_f32 v[54:55], v[36:37], v[8:9], v[2:3] op_sel:[0,0,1] op_sel_hi:[1,1,0] neg_lo:[0,0,1] neg_hi:[0,0,1]
	v_pk_fma_f32 v[8:9], v[36:37], v[8:9], v[2:3] op_sel:[0,0,1] op_sel_hi:[1,0,0]
	v_pk_mul_f32 v[2:3], v[24:25], v[10:11] op_sel:[0,1]
	v_mad_i32_i24 v39, v30, s16, v58
	v_pk_fma_f32 v[36:37], v[24:25], v[10:11], v[2:3] op_sel:[0,0,1] op_sel_hi:[1,1,0] neg_lo:[0,0,1] neg_hi:[0,0,1]
	v_pk_fma_f32 v[10:11], v[24:25], v[10:11], v[2:3] op_sel:[0,0,1] op_sel_hi:[1,0,0]
	v_mov_b32_e32 v2, v13
	v_pk_mul_f32 v[2:3], v[34:35], v[2:3] op_sel_hi:[1,0]
	v_mad_i32_i24 v8, v1, s16, v60
	v_pk_fma_f32 v[24:25], v[34:35], v[12:13], v[2:3] op_sel:[0,0,1] op_sel_hi:[1,1,0] neg_lo:[0,0,1] neg_hi:[0,0,1]
	v_pk_fma_f32 v[12:13], v[34:35], v[12:13], v[2:3] op_sel:[0,0,1] op_sel_hi:[1,0,0]
	v_pk_mul_f32 v[2:3], v[14:15], v[22:23] op_sel:[0,1]
	v_mov_b32_e32 v53, v7
	v_pk_fma_f32 v[34:35], v[14:15], v[22:23], v[2:3] op_sel:[0,0,1] op_sel_hi:[1,1,0] neg_lo:[0,0,1] neg_hi:[0,0,1]
	v_pk_fma_f32 v[14:15], v[14:15], v[22:23], v[2:3] op_sel:[0,0,1] op_sel_hi:[1,0,0]
	ds_read2_b64 v[2:5], v65 offset0:70 offset1:203
	v_pk_mul_f32 v[22:23], v[16:17], v[32:33] op_sel:[0,1]
	v_mov_b32_e32 v55, v9
	v_pk_fma_f32 v[56:57], v[16:17], v[32:33], v[22:23] op_sel:[0,0,1] op_sel_hi:[1,1,0] neg_lo:[0,0,1] neg_hi:[0,0,1]
	v_pk_fma_f32 v[16:17], v[16:17], v[32:33], v[22:23] op_sel:[0,0,1] op_sel_hi:[1,0,0]
	s_waitcnt lgkmcnt(0)
	v_pk_mul_f32 v[22:23], v[4:5], v[6:7] op_sel:[1,0] op_sel_hi:[0,1]
	v_pk_fma_f32 v[22:23], v[4:5], v[40:41], v[22:23] neg_lo:[0,0,1] neg_hi:[0,0,1]
	v_pk_mul_f32 v[32:33], v[4:5], v[40:41] op_sel:[1,0] op_sel_hi:[0,1]
	v_mov_b32_e32 v23, v32
	s_waitcnt vmcnt(2)
	v_pk_mul_f32 v[32:33], v[2:3], v[42:43] op_sel:[0,1]
	v_pk_fma_f32 v[4:5], v[4:5], v[40:41], v[22:23] op_sel:[1,0,0] op_sel_hi:[0,1,1]
	v_pk_fma_f32 v[40:41], v[2:3], v[42:43], v[32:33] op_sel:[0,0,1] op_sel_hi:[1,1,0] neg_lo:[0,0,1] neg_hi:[0,0,1]
	v_pk_fma_f32 v[32:33], v[2:3], v[42:43], v[32:33] op_sel:[0,0,1] op_sel_hi:[1,0,0]
	v_add_u32_e32 v2, 0x3000, v49
	v_mov_b32_e32 v23, v5
	ds_read2_b64 v[2:5], v2 offset0:60 offset1:193
	ds_read_b64 v[6:7], v39
	ds_read_b64 v[8:9], v8
	v_lshlrev_b32_e32 v14, 2, v31
	v_mov_b32_e32 v37, v11
	v_bitop3_b32 v14, v14, 51, v31 bitop3:0xc8
	s_waitcnt vmcnt(1) lgkmcnt(2)
	v_pk_mul_f32 v[10:11], v[4:5], v[44:45] op_sel:[0,1]
	v_mov_b32_e32 v47, v21
	v_mad_i32_i24 v38, v27, s16, v59
	v_mov_b32_e32 v25, v13
	v_pk_fma_f32 v[12:13], v[4:5], v[44:45], v[10:11] op_sel:[0,0,1] op_sel_hi:[1,1,0] neg_lo:[0,0,1] neg_hi:[0,0,1]
	v_pk_fma_f32 v[4:5], v[4:5], v[44:45], v[10:11] op_sel:[0,0,1] op_sel_hi:[1,0,0]
	ds_read_b64 v[10:11], v49
	ds_read_b64 v[20:21], v38
	v_mul_u32_u24_e32 v14, 0x98, v14
	s_waitcnt lgkmcnt(2)
	v_pk_add_f32 v[44:45], v[8:9], v[50:51] neg_lo:[0,1] neg_hi:[0,1]
	v_add3_u32 v50, 0, v14, v48
	v_mov_b32_e32 v35, v15
	v_mov_b32_e32 v57, v17
	v_lshlrev_b32_e32 v4, 2, v30
	s_movk_i32 s16, 0x7ff0
	v_and_or_b32 v4, v4, s16, v63
	v_lshlrev_b32_e32 v13, 2, v27
	v_and_or_b32 v13, v13, s16, v62
	v_mul_u32_u24_e32 v4, 0x98, v4
	v_add3_u32 v51, 0, v4, v48
	v_mul_u32_u24_e32 v4, 0x98, v13
	v_mov_b32_e32 v13, v5
	v_add3_u32 v58, 0, v4, v48
	v_pk_add_f32 v[4:5], v[6:7], v[24:25] neg_lo:[0,1] neg_hi:[0,1]
	v_pk_add_f32 v[12:13], v[36:37], v[12:13] neg_lo:[0,1] neg_hi:[0,1]
	v_pk_fma_f32 v[6:7], v[6:7], 2.0, v[4:5] op_sel_hi:[1,0,1] neg_lo:[0,0,1] neg_hi:[0,0,1]
	v_pk_fma_f32 v[24:25], v[36:37], 2.0, v[12:13] op_sel_hi:[1,0,1] neg_lo:[0,0,1] neg_hi:[0,0,1]
	s_waitcnt lgkmcnt(0)
	s_barrier
	v_mov_b32_e32 v41, v33
	v_pk_add_f32 v[24:25], v[6:7], v[24:25] neg_lo:[0,1] neg_hi:[0,1]
	v_pk_add_f32 v[22:23], v[46:47], v[22:23] neg_lo:[0,1] neg_hi:[0,1]
	;; [unrolled: 1-line block ×4, first 2 shown]
	v_pk_fma_f32 v[6:7], v[6:7], 2.0, v[24:25] op_sel_hi:[1,0,1] neg_lo:[0,0,1] neg_hi:[0,0,1]
	v_pk_fma_f32 v[32:33], v[46:47], 2.0, v[22:23] op_sel_hi:[1,0,1] neg_lo:[0,0,1] neg_hi:[0,0,1]
	;; [unrolled: 1-line block ×4, first 2 shown]
	v_lshlrev_b32_e32 v1, 2, v1
	v_pk_add_f32 v[46:47], v[20:21], v[46:47] neg_lo:[0,1] neg_hi:[0,1]
	v_pk_fma_f32 v[8:9], v[8:9], 2.0, v[44:45] op_sel_hi:[1,0,1] neg_lo:[0,0,1] neg_hi:[0,0,1]
	s_waitcnt vmcnt(0)
	v_pk_mul_f32 v[14:15], v[18:19], v[2:3] op_sel:[0,1]
	v_pk_fma_f32 v[20:21], v[20:21], 2.0, v[46:47] op_sel_hi:[1,0,1] neg_lo:[0,0,1] neg_hi:[0,0,1]
	v_pk_fma_f32 v[16:17], v[18:19], v[2:3], v[14:15] op_sel:[0,0,1] op_sel_hi:[1,1,0] neg_lo:[0,0,1] neg_hi:[0,0,1]
	v_pk_fma_f32 v[2:3], v[18:19], v[2:3], v[14:15] op_sel:[0,0,1] op_sel_hi:[1,0,0]
	v_and_or_b32 v1, v1, s16, v61
	v_mov_b32_e32 v17, v3
	v_pk_add_f32 v[2:3], v[10:11], v[56:57] neg_lo:[0,1] neg_hi:[0,1]
	v_pk_add_f32 v[14:15], v[34:35], v[16:17] neg_lo:[0,1] neg_hi:[0,1]
	v_pk_fma_f32 v[10:11], v[10:11], 2.0, v[2:3] op_sel_hi:[1,0,1] neg_lo:[0,0,1] neg_hi:[0,0,1]
	v_pk_fma_f32 v[16:17], v[34:35], 2.0, v[14:15] op_sel_hi:[1,0,1] neg_lo:[0,0,1] neg_hi:[0,0,1]
	v_pk_add_f32 v[18:19], v[2:3], v[14:15] op_sel:[0,1] op_sel_hi:[1,0] neg_lo:[0,1] neg_hi:[0,1]
	v_pk_add_f32 v[14:15], v[2:3], v[14:15] op_sel:[0,1] op_sel_hi:[1,0]
	v_pk_add_f32 v[16:17], v[10:11], v[16:17] neg_lo:[0,1] neg_hi:[0,1]
	v_mov_b32_e32 v19, v15
	v_pk_fma_f32 v[10:11], v[10:11], 2.0, v[16:17] op_sel_hi:[1,0,1] neg_lo:[0,0,1] neg_hi:[0,0,1]
	v_pk_fma_f32 v[2:3], v[2:3], 2.0, v[18:19] op_sel_hi:[1,0,1] neg_lo:[0,0,1] neg_hi:[0,0,1]
	ds_write2_b64 v50, v[10:11], v[2:3] offset1:76
	ds_write2_b64 v50, v[16:17], v[18:19] offset0:152 offset1:228
	v_pk_add_f32 v[2:3], v[4:5], v[12:13] op_sel:[0,1] op_sel_hi:[1,0] neg_lo:[0,1] neg_hi:[0,1]
	v_pk_add_f32 v[10:11], v[4:5], v[12:13] op_sel:[0,1] op_sel_hi:[1,0]
	v_pk_add_f32 v[32:33], v[8:9], v[32:33] neg_lo:[0,1] neg_hi:[0,1]
	v_mov_b32_e32 v3, v11
	v_pk_fma_f32 v[4:5], v[4:5], 2.0, v[2:3] op_sel_hi:[1,0,1] neg_lo:[0,0,1] neg_hi:[0,0,1]
	ds_write2_b64 v51, v[6:7], v[4:5] offset1:76
	ds_write2_b64 v51, v[24:25], v[2:3] offset0:152 offset1:228
	v_pk_add_f32 v[2:3], v[42:43], v[40:41] op_sel:[0,1] op_sel_hi:[1,0] neg_lo:[0,1] neg_hi:[0,1]
	v_pk_add_f32 v[4:5], v[42:43], v[40:41] op_sel:[0,1] op_sel_hi:[1,0]
	v_mul_u32_u24_e32 v1, 0x98, v1
	v_mov_b32_e32 v3, v5
	v_pk_fma_f32 v[4:5], v[42:43], 2.0, v[2:3] op_sel_hi:[1,0,1] neg_lo:[0,0,1] neg_hi:[0,0,1]
	ds_write2_b64 v58, v[20:21], v[4:5] offset1:76
	ds_write2_b64 v58, v[46:47], v[2:3] offset0:152 offset1:228
	v_pk_add_f32 v[4:5], v[44:45], v[22:23] op_sel:[0,1] op_sel_hi:[1,0] neg_lo:[0,1] neg_hi:[0,1]
	v_pk_add_f32 v[42:43], v[44:45], v[22:23] op_sel:[0,1] op_sel_hi:[1,0]
	v_add3_u32 v1, 0, v1, v48
	v_mov_b32_e32 v42, v4
	v_pk_fma_f32 v[2:3], v[8:9], 2.0, v[32:33] op_sel_hi:[1,0,1] neg_lo:[0,0,1] neg_hi:[0,0,1]
	v_pk_fma_f32 v[4:5], v[44:45], 2.0, v[42:43] op_sel_hi:[1,0,1] neg_lo:[0,0,1] neg_hi:[0,0,1]
	ds_write2_b64 v1, v[2:3], v[4:5] offset1:76
	ds_write2_b64 v1, v[32:33], v[42:43] offset0:152 offset1:228
	v_add_u32_e32 v1, 0x800, v49
	s_waitcnt lgkmcnt(0)
	s_barrier
	ds_read2_b64 v[18:21], v1 offset0:48 offset1:181
	ds_read2_b64 v[14:17], v64 offset0:96 offset1:229
	v_add_u32_e32 v1, 0x1c00, v49
	ds_read2_b64 v[22:25], v1 offset0:16 offset1:149
	v_add_u32_e32 v1, 0x2400, v49
	;; [unrolled: 2-line block ×3, first 2 shown]
	ds_read2_b64 v[10:13], v1 offset0:112 offset1:245
	ds_read2_b64 v[6:9], v65 offset0:32 offset1:165
	ds_read_b64 v[58:59], v49
	ds_read_b64 v[50:51], v39
                                        ; implicit-def: $vgpr34_vgpr35
                                        ; implicit-def: $vgpr36_vgpr37
	s_and_saveexec_b64 s[16:17], vcc
	s_xor_b64 s[16:17], exec, s[16:17]
; %bb.11:
	v_mov_b32_e32 v34, v43
	v_mov_b64_e32 v[36:37], v[42:43]
                                        ; implicit-def: $vgpr38
                                        ; implicit-def: $vgpr49
; %bb.12:
	s_or_saveexec_b64 s[16:17], s[16:17]
                                        ; implicit-def: $vgpr46
                                        ; implicit-def: $vgpr48
                                        ; implicit-def: $vgpr39
                                        ; implicit-def: $vgpr44
                                        ; implicit-def: $vgpr40
	s_xor_b64 exec, exec, s[16:17]
	s_cbranch_execz .LBB0_14
; %bb.13:
	ds_read_b64 v[32:33], v38
	ds_read_b64 v[42:43], v49 offset:4560
	ds_read_b64 v[44:45], v49 offset:6992
	;; [unrolled: 1-line block ×6, first 2 shown]
	s_waitcnt lgkmcnt(5)
	v_mov_b32_e32 v36, v42
	s_waitcnt lgkmcnt(3)
	v_mov_b32_e32 v37, v47
	v_mov_b32_e32 v34, v43
.LBB0_14:
	s_or_b64 exec, exec, s[16:17]
	v_and_b32_e32 v76, 15, v30
	v_mul_u32_u24_e32 v1, 6, v76
	v_lshlrev_b32_e32 v77, 3, v1
	global_load_dwordx4 v[52:55], v77, s[14:15] offset:96
	global_load_dwordx4 v[66:69], v77, s[14:15] offset:112
	v_mul_u32_u24_e32 v1, 6, v31
	v_lshlrev_b32_e32 v75, 3, v1
	global_load_dwordx4 v[70:73], v75, s[14:15] offset:96
	global_load_dwordx4 v[78:81], v75, s[14:15] offset:112
	s_load_dwordx2 s[16:17], s[0:1], 0x8
	v_or_b32_e32 v35, 16, v31
	v_mul_lo_u32 v96, v28, v31
	v_mov_b32_e32 v1, 3
	v_mul_lo_u32 v97, v28, v35
	s_waitcnt lgkmcnt(0)
	v_mov_b32_e32 v56, v21
	v_mov_b32_e32 v57, v20
	v_lshlrev_b32_sdwa v47, v1, v96 dst_sel:DWORD dst_unused:UNUSED_PAD src0_sel:DWORD src1_sel:BYTE_0
	v_lshlrev_b32_sdwa v63, v1, v97 dst_sel:DWORD dst_unused:UNUSED_PAD src0_sel:DWORD src1_sel:BYTE_0
	v_lshlrev_b32_sdwa v62, v1, v96 dst_sel:DWORD dst_unused:UNUSED_PAD src0_sel:DWORD src1_sel:BYTE_1
	global_load_dwordx2 v[84:85], v47, s[16:17]
	global_load_dwordx2 v[90:91], v62, s[16:17] offset:2048
	global_load_dwordx2 v[92:93], v63, s[16:17]
	v_mov_b32_e32 v21, v25
	v_mov_b32_e32 v83, v24
	;; [unrolled: 1-line block ×6, first 2 shown]
	v_lshlrev_b32_sdwa v94, v1, v97 dst_sel:DWORD dst_unused:UNUSED_PAD src0_sel:DWORD src1_sel:BYTE_1
	v_mov_b32_e32 v87, v22
	v_mov_b32_e32 v89, v23
	;; [unrolled: 1-line block ×4, first 2 shown]
	v_or_b32_e32 v47, 32, v31
	v_mul_lo_u32 v98, v28, v47
	v_or_b32_e32 v108, 64, v31
	v_mul_lo_u32 v103, v28, v108
	v_mov_b32_e32 v82, v16
	v_or_b32_e32 v109, 0x60, v31
	s_mov_b32 s20, 0x3eae86e6
	s_mov_b32 s24, 0x3f955555
	;; [unrolled: 1-line block ×10, first 2 shown]
	v_or_b32_e32 v111, 0x50, v31
	s_mov_b32 s30, 0x3f3bfb3b
	s_mov_b32 s28, 0x3f5ff5aa
	v_or_b32_e32 v110, 48, v31
	s_andn2_b64 vcc, exec, s[2:3]
	s_waitcnt vmcnt(6)
	v_pk_mul_f32 v[64:65], v[52:53], v[56:57]
	s_waitcnt vmcnt(5)
	v_mov_b32_e32 v63, v66
	v_mov_b32_e32 v95, v66
	;; [unrolled: 1-line block ×5, first 2 shown]
	v_pk_mul_f32 v[56:57], v[66:67], v[56:57]
	s_waitcnt vmcnt(4)
	v_mul_f32_e32 v24, v71, v18
	v_pk_fma_f32 v[52:53], v[62:63], v[20:21], v[56:57] neg_lo:[0,0,1] neg_hi:[0,0,1]
	v_pk_fma_f32 v[20:21], v[62:63], v[20:21], v[56:57]
	v_fmac_f32_e32 v24, v70, v19
	v_mov_b32_e32 v18, v73
	s_waitcnt vmcnt(3)
	v_mov_b32_e32 v19, v78
	v_mov_b32_e32 v20, v79
	v_pk_mul_f32 v[56:57], v[18:19], v[60:61]
	v_pk_mul_f32 v[62:63], v[54:55], v[16:17]
	v_pk_fma_f32 v[18:19], v[20:21], v[22:23], v[56:57] op_sel:[0,1,1] op_sel_hi:[1,1,0] neg_lo:[1,0,0] neg_hi:[1,0,0]
	global_load_dwordx2 v[22:23], v94, s[16:17] offset:2048
	v_lshlrev_b32_sdwa v20, v1, v98 dst_sel:DWORD dst_unused:UNUSED_PAD src0_sel:DWORD src1_sel:BYTE_0
	v_mov_b32_e32 v16, v25
	s_waitcnt vmcnt(2)
	v_mul_f32_e32 v19, v85, v91
	v_mul_f32_e32 v25, v84, v91
	v_mov_b32_e32 v94, v55
	v_fma_f32 v19, v84, v90, -v19
	v_fmac_f32_e32 v25, v85, v90
	v_mov_b32_e32 v55, v54
	v_mov_b32_e32 v54, v67
	s_waitcnt vmcnt(0)
	v_mul_f32_e32 v53, v93, v23
	v_mul_f32_e32 v99, v92, v23
	v_fma_f32 v100, v92, v22, -v53
	v_fmac_f32_e32 v99, v93, v22
	v_lshlrev_b32_sdwa v53, v1, v98 dst_sel:DWORD dst_unused:UNUSED_PAD src0_sel:DWORD src1_sel:BYTE_1
	global_load_dwordx2 v[22:23], v20, s[16:17]
	global_load_dwordx2 v[60:61], v53, s[16:17] offset:2048
	v_lshlrev_b32_sdwa v53, v1, v103 dst_sel:DWORD dst_unused:UNUSED_PAD src0_sel:DWORD src1_sel:BYTE_1
	v_mov_b32_e32 v93, v2
	v_mov_b32_e32 v92, v7
	s_waitcnt vmcnt(0)
	v_mul_f32_e32 v20, v23, v61
	v_fma_f32 v101, v22, v60, -v20
	v_mul_f32_e32 v102, v22, v61
	v_lshlrev_b32_sdwa v20, v1, v103 dst_sel:DWORD dst_unused:UNUSED_PAD src0_sel:DWORD src1_sel:BYTE_0
	v_fmac_f32_e32 v102, v23, v60
	global_load_dwordx2 v[22:23], v20, s[16:17]
	global_load_dwordx2 v[60:61], v53, s[16:17] offset:2048
	s_waitcnt vmcnt(0)
	v_mul_f32_e32 v20, v23, v61
	v_mul_f32_e32 v105, v22, v61
	v_fma_f32 v104, v22, v60, -v20
	v_fmac_f32_e32 v105, v23, v60
	v_mov_b32_e32 v22, v79
	v_mov_b32_e32 v23, v72
	v_pk_fma_f32 v[60:61], v[22:23], v[14:15], v[56:57] op_sel:[0,0,1] op_sel_hi:[1,1,0]
	v_pk_mul_f32 v[56:57], v[82:83], v[94:95]
	global_load_dwordx4 v[82:85], v75, s[14:15] offset:128
	v_mov_b32_e32 v14, v67
	v_pk_fma_f32 v[22:23], v[16:17], v[14:15], v[56:57] op_sel:[0,0,1] op_sel_hi:[1,1,0] neg_lo:[1,0,0] neg_hi:[1,0,0]
	v_pk_fma_f32 v[54:55], v[16:17], v[54:55], v[56:57] op_sel:[0,0,1] op_sel_hi:[1,1,0]
	v_mov_b32_e32 v14, v15
	v_mov_b32_e32 v15, v11
	;; [unrolled: 1-line block ×6, first 2 shown]
	s_waitcnt vmcnt(0)
	v_mov_b32_e32 v17, v83
	v_pk_mul_f32 v[14:15], v[16:17], v[14:15]
	v_mov_b32_e32 v16, v72
	v_mov_b32_e32 v17, v82
	v_pk_fma_f32 v[16:17], v[16:17], v[74:75], v[14:15] neg_lo:[0,0,1] neg_hi:[0,0,1]
	global_load_dwordx4 v[72:75], v77, s[14:15] offset:128
	v_mov_b32_e32 v15, v78
	v_mov_b32_e32 v78, v71
	;; [unrolled: 1-line block ×3, first 2 shown]
	v_pk_mul_f32 v[56:57], v[78:79], v[86:87]
	v_mov_b32_e32 v86, v4
	v_pk_fma_f32 v[70:71], v[14:15], v[88:89], v[56:57] neg_lo:[0,0,1] neg_hi:[0,0,1]
	v_pk_fma_f32 v[14:15], v[14:15], v[88:89], v[56:57]
	v_mov_b32_e32 v56, v5
	v_mov_b32_e32 v57, v12
	;; [unrolled: 1-line block ×7, first 2 shown]
	s_waitcnt vmcnt(0)
	v_mov_b32_e32 v89, v72
	v_pk_mul_f32 v[66:67], v[12:13], v[72:73]
	v_mov_b32_e32 v72, v69
	v_pk_mul_f32 v[90:91], v[56:57], v[72:73]
	v_mov_b32_e32 v12, v9
	v_mov_b32_e32 v13, v4
	v_pk_fma_f32 v[56:57], v[86:87], v[68:69], v[90:91] neg_lo:[0,0,1] neg_hi:[0,0,1]
	v_mov_b32_e32 v73, v68
	v_mov_b32_e32 v68, v75
	v_pk_mul_f32 v[78:79], v[12:13], v[68:69]
	v_pk_mul_f32 v[68:69], v[8:9], v[74:75] op_sel:[1,0] op_sel_hi:[0,1]
	v_mov_b32_e32 v13, v10
	v_mov_b32_e32 v75, v82
	;; [unrolled: 1-line block ×7, first 2 shown]
	v_pk_mul_f32 v[82:83], v[82:83], v[12:13]
	v_mov_b32_e32 v9, v5
	v_pk_fma_f32 v[12:13], v[74:75], v[10:11], v[82:83]
	v_mul_f32_e32 v74, v85, v6
	v_pk_fma_f32 v[10:11], v[80:81], v[2:3], v[82:83] op_sel_hi:[1,0,1] neg_lo:[0,0,1] neg_hi:[0,0,1]
	v_mov_b32_e32 v83, v3
	v_pk_fma_f32 v[4:5], v[8:9], v[72:73], v[78:79] neg_lo:[0,0,1] neg_hi:[0,0,1]
	v_pk_fma_f32 v[2:3], v[8:9], v[72:73], v[78:79]
	v_fmac_f32_e32 v74, v84, v7
	v_mov_b32_e32 v7, v80
	v_mov_b32_e32 v80, v85
	v_mul_lo_u32 v79, v28, v76
	v_mov_b32_e32 v82, v6
	v_mov_b32_e32 v6, v84
	v_pk_mul_f32 v[8:9], v[80:81], v[92:93]
	v_lshlrev_b32_sdwa v2, v1, v79 dst_sel:DWORD dst_unused:UNUSED_PAD src0_sel:DWORD src1_sel:BYTE_0
	v_pk_fma_f32 v[72:73], v[6:7], v[82:83], v[8:9] neg_lo:[0,0,1] neg_hi:[0,0,1]
	v_pk_fma_f32 v[8:9], v[6:7], v[82:83], v[8:9]
	v_lshlrev_b32_sdwa v5, v1, v79 dst_sel:DWORD dst_unused:UNUSED_PAD src0_sel:DWORD src1_sel:BYTE_1
	global_load_dwordx2 v[6:7], v2, s[16:17]
	global_load_dwordx2 v[80:81], v5, s[16:17] offset:2048
	v_mov_b32_e32 v75, v72
	v_mov_b32_e32 v73, v9
	v_pk_add_f32 v[72:73], v[70:71], v[72:73]
	s_waitcnt vmcnt(0)
	v_mul_f32_e32 v2, v7, v81
	v_fma_f32 v77, v6, v80, -v2
	v_mul_f32_e32 v78, v6, v81
	v_or_b32_e32 v2, 16, v76
	v_fmac_f32_e32 v78, v7, v80
	v_mul_lo_u32 v80, v28, v2
	v_lshlrev_b32_sdwa v2, v1, v80 dst_sel:DWORD dst_unused:UNUSED_PAD src0_sel:DWORD src1_sel:BYTE_0
	v_lshlrev_b32_sdwa v5, v1, v80 dst_sel:DWORD dst_unused:UNUSED_PAD src0_sel:DWORD src1_sel:BYTE_1
	global_load_dwordx2 v[6:7], v2, s[16:17]
	global_load_dwordx2 v[82:83], v5, s[16:17] offset:2048
	s_waitcnt vmcnt(0)
	v_mul_f32_e32 v2, v7, v83
	v_fma_f32 v23, v6, v82, -v2
	v_or_b32_e32 v2, 32, v76
	v_mul_lo_u32 v81, v28, v2
	v_mul_f32_e32 v53, v6, v83
	v_lshlrev_b32_sdwa v2, v1, v81 dst_sel:DWORD dst_unused:UNUSED_PAD src0_sel:DWORD src1_sel:BYTE_0
	v_fmac_f32_e32 v53, v7, v82
	global_load_dwordx2 v[6:7], v2, s[16:17]
	v_lshlrev_b32_sdwa v2, v1, v81 dst_sel:DWORD dst_unused:UNUSED_PAD src0_sel:DWORD src1_sel:BYTE_1
	global_load_dwordx2 v[82:83], v2, s[16:17] offset:2048
	s_waitcnt vmcnt(0)
	v_mul_f32_e32 v2, v7, v83
	v_fma_f32 v2, v6, v82, -v2
	v_mul_f32_e32 v5, v6, v83
	v_or_b32_e32 v6, 64, v76
	v_fmac_f32_e32 v5, v7, v82
	v_mul_lo_u32 v82, v28, v6
	v_lshlrev_b32_sdwa v8, v1, v82 dst_sel:DWORD dst_unused:UNUSED_PAD src0_sel:DWORD src1_sel:BYTE_0
	v_lshlrev_b32_sdwa v11, v1, v82 dst_sel:DWORD dst_unused:UNUSED_PAD src0_sel:DWORD src1_sel:BYTE_1
	global_load_dwordx2 v[6:7], v8, s[16:17]
	global_load_dwordx2 v[84:85], v11, s[16:17] offset:2048
	s_waitcnt vmcnt(0)
	v_mul_f32_e32 v8, v7, v85
	v_mul_f32_e32 v57, v6, v85
	v_fma_f32 v54, v6, v84, -v8
	v_fmac_f32_e32 v57, v7, v84
	v_pk_fma_f32 v[6:7], v[86:87], v[88:89], v[90:91]
	s_nop 0
	v_bfe_u32 v6, v96, 16, 8
	v_lshl_or_b32 v6, v6, 3, v20
	global_load_dwordx2 v[84:85], v6, s[16:17]
	s_waitcnt vmcnt(0)
	v_mul_f32_e32 v6, v25, v85
	v_fma_f32 v83, v84, v19, -v6
	v_bfe_u32 v6, v97, 16, 8
	v_mul_f32_e32 v90, v19, v85
	v_lshl_or_b32 v6, v6, 3, v20
	v_fmac_f32_e32 v90, v84, v25
	global_load_dwordx2 v[84:85], v6, s[16:17]
	v_mov_b32_e32 v25, v70
	v_mov_b32_e32 v19, v61
	;; [unrolled: 1-line block ×3, first 2 shown]
	s_waitcnt vmcnt(0)
	v_mul_f32_e32 v6, v99, v85
	v_fma_f32 v106, v84, v100, -v6
	v_bfe_u32 v6, v98, 16, 8
	v_mul_f32_e32 v100, v100, v85
	v_lshl_or_b32 v6, v6, 3, v20
	v_fmac_f32_e32 v100, v84, v99
	global_load_dwordx2 v[84:85], v6, s[16:17]
	s_waitcnt vmcnt(0)
	v_mul_f32_e32 v6, v102, v85
	v_fma_f32 v98, v84, v101, -v6
	v_bfe_u32 v6, v103, 16, 8
	v_mul_f32_e32 v99, v101, v85
	v_lshl_or_b32 v6, v6, 3, v20
	v_fmac_f32_e32 v99, v84, v102
	global_load_dwordx2 v[84:85], v6, s[16:17]
	s_waitcnt vmcnt(0)
	v_mul_f32_e32 v6, v105, v85
	v_fma_f32 v101, v84, v104, -v6
	v_mul_lo_u32 v6, v28, v109
	v_mul_f32_e32 v102, v104, v85
	v_lshlrev_b32_sdwa v8, v1, v6 dst_sel:DWORD dst_unused:UNUSED_PAD src0_sel:DWORD src1_sel:BYTE_0
	v_fmac_f32_e32 v102, v84, v105
	v_lshlrev_b32_sdwa v11, v1, v6 dst_sel:DWORD dst_unused:UNUSED_PAD src0_sel:DWORD src1_sel:BYTE_1
	global_load_dwordx2 v[84:85], v8, s[16:17]
	global_load_dwordx2 v[86:87], v11, s[16:17] offset:2048
	v_bfe_u32 v6, v6, 16, 8
	v_lshl_or_b32 v6, v6, 3, v20
	s_waitcnt vmcnt(0)
	v_mul_f32_e32 v8, v84, v86
	v_fma_f32 v8, -v85, v87, v8
	v_pk_mul_f32 v[84:85], v[84:85], v[86:87] op_sel:[1,0] op_sel_hi:[0,1]
	v_add_f32_e32 v11, v84, v85
	global_load_dwordx2 v[84:85], v6, s[16:17]
	s_waitcnt vmcnt(0)
	v_mul_f32_e32 v6, v8, v85
	v_fmac_f32_e32 v6, v84, v11
	v_mul_f32_e32 v11, v11, v85
	v_fma_f32 v12, v84, v8, -v11
	v_mov_b32_e32 v8, v17
	v_add_f32_e32 v85, v24, v74
	v_pk_add_f32 v[24:25], v[24:25], v[74:75] neg_lo:[0,1] neg_hi:[0,1]
	v_pk_add_f32 v[74:75], v[16:17], v[8:9]
	v_mov_b32_e32 v16, v13
	v_mov_b32_e32 v8, v9
	v_mov_b32_e32 v9, v10
	v_pk_add_f32 v[86:87], v[60:61], v[16:17] neg_lo:[0,1] neg_hi:[0,1]
	v_pk_add_f32 v[8:9], v[8:9], v[14:15] neg_lo:[0,1] neg_hi:[0,1]
	v_mov_b32_e32 v11, v13
	v_mov_b32_e32 v14, v8
	;; [unrolled: 1-line block ×5, first 2 shown]
	v_pk_add_f32 v[10:11], v[18:19], v[10:11]
	v_pk_add_f32 v[16:17], v[14:15], v[16:17] neg_lo:[0,1] neg_hi:[0,1]
	v_mov_b32_e32 v14, v24
	v_mov_b32_e32 v15, v9
	v_pk_add_f32 v[18:19], v[8:9], v[86:87]
	v_mov_b32_e32 v9, v87
	v_pk_add_f32 v[88:89], v[14:15], v[8:9] neg_lo:[0,1] neg_hi:[0,1]
	v_pk_add_f32 v[8:9], v[74:75], v[72:73]
	v_add_f32_e32 v15, v11, v85
	v_mov_b32_e32 v9, v73
	v_mov_b32_e32 v14, v10
	v_pk_add_f32 v[8:9], v[8:9], v[14:15]
	v_mov_b32_e32 v84, v10
	v_pk_add_f32 v[58:59], v[8:9], v[58:59]
	v_mov_b32_e32 v75, v73
	v_mul_f32_e32 v13, v59, v90
	v_mul_f32_e32 v15, v58, v90
	v_fma_f32 v14, v58, v83, -v13
	v_fmac_f32_e32 v15, v59, v83
	v_pk_fma_f32 v[58:59], v[8:9], s[24:25], v[58:59] op_sel_hi:[1,0,1] neg_lo:[1,0,0] neg_hi:[1,0,0]
	v_pk_add_f32 v[8:9], v[84:85], v[74:75] neg_lo:[0,1] neg_hi:[0,1]
	v_pk_add_f32 v[60:61], v[18:19], v[24:25]
	v_pk_mul_f32 v[90:91], v[8:9], s[22:23]
	v_pk_mul_f32 v[70:71], v[16:17], s[26:27]
	v_pk_add_f32 v[18:19], v[72:73], v[10:11] neg_lo:[0,1] neg_hi:[0,1]
	v_pk_fma_f32 v[16:17], v[88:89], s[20:21], v[70:71]
	v_pk_fma_f32 v[8:9], v[18:19], s[0:1], v[90:91]
	v_pk_fma_f32 v[16:17], v[60:61], s[18:19], v[16:17] op_sel_hi:[1,0,1]
	v_pk_add_f32 v[8:9], v[8:9], v[58:59]
	v_mov_b32_e32 v75, v11
	v_pk_add_f32 v[92:93], v[16:17], v[8:9]
	v_pk_add_f32 v[94:95], v[8:9], v[16:17] neg_lo:[0,1] neg_hi:[0,1]
	v_mov_b32_e32 v8, v93
	v_mov_b32_e32 v9, v94
	v_pk_mul_f32 v[96:97], v[8:9], v[6:7] op_sel_hi:[1,0]
	v_mul_f32_e32 v6, v95, v100
	v_fma_f32 v16, v92, v106, -v6
	v_mul_f32_e32 v17, v92, v100
	v_mov_b32_e32 v92, v94
	v_pk_fma_f32 v[8:9], v[92:93], v[12:13], v[96:97] op_sel_hi:[1,0,1]
	v_mul_lo_u32 v6, v28, v111
	v_lshlrev_b32_sdwa v8, v1, v6 dst_sel:DWORD dst_unused:UNUSED_PAD src0_sel:DWORD src1_sel:BYTE_0
	global_load_dwordx2 v[92:93], v8, s[16:17]
	v_lshlrev_b32_sdwa v8, v1, v6 dst_sel:DWORD dst_unused:UNUSED_PAD src0_sel:DWORD src1_sel:BYTE_1
	v_pk_fma_f32 v[12:13], v[94:95], v[12:13], v[96:97] neg_lo:[0,0,1] neg_hi:[0,0,1]
	v_fmac_f32_e32 v17, v95, v106
	global_load_dwordx2 v[94:95], v8, s[16:17] offset:2048
	v_bfe_u32 v6, v6, 16, 8
	v_lshl_or_b32 v6, v6, 3, v20
	v_mov_b32_e32 v73, v85
	v_pk_add_f32 v[72:73], v[74:75], v[72:73] neg_lo:[0,1] neg_hi:[0,1]
	v_pk_add_f32 v[74:75], v[86:87], v[24:25] neg_lo:[0,1] neg_hi:[0,1]
	v_pk_mul_f32 v[84:85], v[18:19], s[0:1]
	v_pk_mul_f32 v[86:87], v[88:89], s[20:21]
	v_mov_b32_e32 v11, v91
	v_mov_b32_e32 v18, v86
	;; [unrolled: 1-line block ×3, first 2 shown]
	v_pk_fma_f32 v[18:19], v[74:75], s[28:29], v[18:19] op_sel_hi:[1,0,1] neg_lo:[1,0,1] neg_hi:[1,0,1]
	v_mov_b32_e32 v91, v85
	v_pk_fma_f32 v[18:19], v[60:61], s[18:19], v[18:19] op_sel_hi:[1,0,1]
	v_mov_b32_e32 v71, v87
	v_pk_fma_f32 v[70:71], v[74:75], s[28:29], v[70:71] op_sel_hi:[1,0,1] neg_lo:[0,0,1] neg_hi:[0,0,1]
	s_waitcnt vmcnt(0)
	v_mul_f32_e32 v8, v92, v94
	v_fma_f32 v8, -v93, v95, v8
	v_pk_mul_f32 v[92:93], v[92:93], v[94:95] op_sel:[1,0] op_sel_hi:[0,1]
	v_add_f32_e32 v10, v92, v93
	global_load_dwordx2 v[92:93], v6, s[16:17]
	v_pk_fma_f32 v[60:61], v[60:61], s[18:19], v[70:71] op_sel_hi:[1,0,1]
	s_waitcnt vmcnt(0)
	v_mul_f32_e32 v6, v8, v93
	v_fmac_f32_e32 v6, v92, v10
	v_mul_f32_e32 v10, v10, v93
	v_fma_f32 v8, v92, v8, -v10
	v_mov_b32_e32 v10, v84
	v_pk_fma_f32 v[10:11], v[72:73], s[30:31], v[10:11] op_sel_hi:[1,0,1] neg_lo:[1,0,1] neg_hi:[1,0,1]
	v_pk_fma_f32 v[72:73], v[72:73], s[30:31], v[90:91] op_sel_hi:[1,0,1] neg_lo:[0,0,1] neg_hi:[0,0,1]
	v_pk_add_f32 v[10:11], v[10:11], v[58:59]
	v_pk_add_f32 v[58:59], v[72:73], v[58:59]
	;; [unrolled: 1-line block ×3, first 2 shown]
	v_pk_add_f32 v[92:93], v[10:11], v[18:19] neg_lo:[0,1] neg_hi:[0,1]
	v_mov_b32_e32 v10, v89
	v_mov_b32_e32 v11, v92
	v_pk_mul_f32 v[18:19], v[10:11], v[6:7] op_sel_hi:[1,0]
	v_mul_f32_e32 v6, v93, v99
	v_fma_f32 v24, v88, v98, -v6
	v_mul_f32_e32 v25, v88, v99
	v_mov_b32_e32 v88, v92
	v_mul_lo_u32 v6, v28, v110
	v_pk_fma_f32 v[10:11], v[88:89], v[8:9], v[18:19] op_sel_hi:[1,0,1]
	v_pk_fma_f32 v[18:19], v[92:93], v[8:9], v[18:19] neg_lo:[0,0,1] neg_hi:[0,0,1]
	v_lshlrev_b32_sdwa v8, v1, v6 dst_sel:DWORD dst_unused:UNUSED_PAD src0_sel:DWORD src1_sel:BYTE_0
	v_fmac_f32_e32 v25, v93, v98
	v_lshlrev_b32_sdwa v10, v1, v6 dst_sel:DWORD dst_unused:UNUSED_PAD src0_sel:DWORD src1_sel:BYTE_1
	global_load_dwordx2 v[88:89], v8, s[16:17]
	global_load_dwordx2 v[92:93], v10, s[16:17] offset:2048
	v_bfe_u32 v6, v6, 16, 8
	v_lshl_or_b32 v6, v6, 3, v20
	v_pk_add_f32 v[72:73], v[58:59], v[60:61] neg_lo:[0,1] neg_hi:[0,1]
	v_pk_add_f32 v[60:61], v[58:59], v[60:61]
	v_mov_b32_e32 v59, v72
	v_mov_b32_e32 v58, v61
	s_waitcnt vmcnt(0)
	v_mul_f32_e32 v8, v88, v92
	v_fma_f32 v8, -v89, v93, v8
	v_pk_mul_f32 v[88:89], v[88:89], v[92:93] op_sel:[1,0] op_sel_hi:[0,1]
	v_add_f32_e32 v10, v88, v89
	global_load_dwordx2 v[88:89], v6, s[16:17]
	s_waitcnt vmcnt(0)
	v_mul_f32_e32 v6, v8, v89
	v_fmac_f32_e32 v6, v88, v10
	v_mul_f32_e32 v10, v10, v89
	v_fma_f32 v8, v88, v8, -v10
	v_bfe_u32 v10, v79, 16, 8
	v_lshl_or_b32 v10, v10, 3, v20
	global_load_dwordx2 v[84:85], v10, s[16:17]
	v_bfe_u32 v10, v80, 16, 8
	v_lshl_or_b32 v10, v10, 3, v20
	global_load_dwordx2 v[74:75], v10, s[16:17]
	;; [unrolled: 3-line block ×4, first 2 shown]
	v_pk_mul_f32 v[80:81], v[58:59], v[6:7] op_sel_hi:[1,0]
	v_mul_f32_e32 v6, v73, v102
	v_fma_f32 v58, v60, v101, -v6
	v_or_b32_e32 v6, 0x50, v76
	v_mul_f32_e32 v59, v60, v102
	v_mov_b32_e32 v60, v72
	v_mul_lo_u32 v6, v28, v6
	v_pk_fma_f32 v[70:71], v[60:61], v[8:9], v[80:81] op_sel_hi:[1,0,1]
	v_pk_fma_f32 v[60:61], v[72:73], v[8:9], v[80:81] neg_lo:[0,0,1] neg_hi:[0,0,1]
	v_lshlrev_b32_sdwa v8, v1, v6 dst_sel:DWORD dst_unused:UNUSED_PAD src0_sel:DWORD src1_sel:BYTE_0
	v_lshlrev_b32_sdwa v10, v1, v6 dst_sel:DWORD dst_unused:UNUSED_PAD src0_sel:DWORD src1_sel:BYTE_1
	global_load_dwordx2 v[88:89], v8, s[16:17]
	global_load_dwordx2 v[90:91], v10, s[16:17] offset:2048
	v_bfe_u32 v6, v6, 16, 8
	v_lshl_or_b32 v6, v6, 3, v20
	global_load_dwordx2 v[92:93], v6, s[16:17]
	v_fmac_f32_e32 v59, v73, v101
	v_mov_b32_e32 v79, v68
	v_mov_b32_e32 v68, v65
	s_waitcnt vmcnt(6)
	v_mul_f32_e32 v6, v78, v85
	v_fma_f32 v13, v84, v77, -v6
	v_mul_f32_e32 v19, v77, v85
	v_or_b32_e32 v6, 48, v76
	v_fmac_f32_e32 v19, v84, v78
	v_mul_lo_u32 v84, v28, v6
	v_lshlrev_b32_sdwa v6, v1, v84 dst_sel:DWORD dst_unused:UNUSED_PAD src0_sel:DWORD src1_sel:BYTE_0
	global_load_dwordx2 v[72:73], v6, s[16:17]
	s_waitcnt vmcnt(5)
	v_mul_f32_e32 v6, v5, v87
	v_fma_f32 v70, v86, v2, -v6
	v_mul_f32_e32 v80, v2, v87
	s_waitcnt vmcnt(4)
	v_mul_f32_e32 v2, v57, v83
	v_fma_f32 v61, v82, v54, -v2
	v_or_b32_e32 v2, 0x60, v76
	v_mul_f32_e32 v8, v53, v75
	v_mul_lo_u32 v81, v28, v2
	v_fma_f32 v8, v74, v23, -v8
	v_mul_f32_e32 v10, v23, v75
	v_lshlrev_b32_sdwa v23, v1, v84 dst_sel:DWORD dst_unused:UNUSED_PAD src0_sel:DWORD src1_sel:BYTE_1
	v_lshlrev_b32_sdwa v2, v1, v81 dst_sel:DWORD dst_unused:UNUSED_PAD src0_sel:DWORD src1_sel:BYTE_0
	v_fmac_f32_e32 v10, v74, v53
	global_load_dwordx2 v[74:75], v23, s[16:17] offset:2048
	v_mov_b32_e32 v78, v64
	global_load_dwordx2 v[64:65], v2, s[16:17]
	s_waitcnt vmcnt(4)
	v_mul_f32_e32 v2, v88, v90
	v_fma_f32 v2, -v89, v91, v2
	v_pk_mul_f32 v[76:77], v[88:89], v[90:91] op_sel:[1,0] op_sel_hi:[0,1]
	v_fmac_f32_e32 v80, v86, v5
	v_pk_add_f32 v[68:69], v[78:79], v[68:69]
	v_add_f32_e32 v5, v76, v77
	s_waitcnt vmcnt(3)
	v_mul_f32_e32 v6, v2, v93
	v_fmac_f32_e32 v6, v92, v5
	v_mul_f32_e32 v5, v5, v93
	v_mov_b32_e32 v76, v62
	v_mov_b32_e32 v77, v66
	;; [unrolled: 1-line block ×4, first 2 shown]
	v_fma_f32 v2, v92, v2, -v5
	v_pk_add_f32 v[76:77], v[76:77], v[66:67] neg_lo:[0,1] neg_hi:[0,1]
	v_pk_add_f32 v[62:63], v[68:69], v[62:63]
	v_mov_b32_e32 v66, v68
	v_mov_b32_e32 v67, v52
	;; [unrolled: 1-line block ×4, first 2 shown]
	v_bfe_u32 v5, v84, 16, 8
	v_mul_f32_e32 v54, v54, v83
	v_pk_add_f32 v[66:67], v[66:67], v[68:69] neg_lo:[0,1] neg_hi:[0,1]
	v_mov_b32_e32 v68, v77
	v_lshl_or_b32 v5, v5, 3, v20
	v_fmac_f32_e32 v54, v82, v57
	v_pk_add_f32 v[68:69], v[76:77], v[68:69]
	global_load_dwordx2 v[78:79], v5, s[16:17]
	v_mov_b32_e32 v82, v55
	v_mov_b32_e32 v83, v76
	;; [unrolled: 1-line block ×7, first 2 shown]
	v_pk_add_f32 v[76:77], v[82:83], v[76:77] neg_lo:[0,1] neg_hi:[0,1]
	v_pk_add_f32 v[4:5], v[52:53], v[4:5]
	v_mov_b32_e32 v52, v3
	v_mov_b32_e32 v53, v56
	;; [unrolled: 1-line block ×4, first 2 shown]
	v_pk_add_f32 v[56:57], v[22:23], v[56:57]
	v_pk_add_f32 v[22:23], v[52:53], v[82:83] neg_lo:[0,1] neg_hi:[0,1]
	v_mov_b32_e32 v53, v67
	v_mov_b32_e32 v52, v22
	;; [unrolled: 1-line block ×4, first 2 shown]
	v_pk_add_f32 v[52:53], v[52:53], v[82:83] neg_lo:[0,1] neg_hi:[0,1]
	v_mov_b32_e32 v82, v66
	v_pk_add_f32 v[84:85], v[22:23], v[76:77]
	v_mov_b32_e32 v23, v77
	v_mov_b32_e32 v3, v62
	v_pk_add_f32 v[82:83], v[82:83], v[22:23] neg_lo:[0,1] neg_hi:[0,1]
	v_pk_add_f32 v[22:23], v[56:57], v[2:3]
	v_pk_add_f32 v[86:87], v[68:69], v[4:5]
	v_mov_b32_e32 v22, v56
	v_mov_b32_e32 v87, v5
	v_pk_add_f32 v[86:87], v[86:87], v[22:23]
	v_mov_b32_e32 v69, v5
	v_pk_add_f32 v[50:51], v[86:87], v[50:51]
	v_pk_add_f32 v[92:93], v[4:5], v[56:57] neg_lo:[0,1] neg_hi:[0,1]
	v_mul_f32_e32 v3, v51, v19
	v_fma_f32 v22, v50, v13, -v3
	v_lshlrev_b32_sdwa v3, v1, v81 dst_sel:DWORD dst_unused:UNUSED_PAD src0_sel:DWORD src1_sel:BYTE_1
	global_load_dwordx2 v[88:89], v3, s[16:17] offset:2048
	v_bfe_u32 v3, v81, 16, 8
	v_lshl_or_b32 v3, v3, 3, v20
	global_load_dwordx2 v[90:91], v3, s[16:17]
	v_mul_f32_e32 v23, v50, v19
	v_fmac_f32_e32 v23, v51, v13
	v_pk_fma_f32 v[86:87], v[86:87], s[24:25], v[50:51] op_sel_hi:[1,0,1] neg_lo:[1,0,0] neg_hi:[1,0,0]
	v_mov_b32_e32 v50, v56
	v_mov_b32_e32 v51, v62
	v_pk_add_f32 v[50:51], v[50:51], v[68:69] neg_lo:[0,1] neg_hi:[0,1]
	v_mov_b32_e32 v69, v57
	v_mov_b32_e32 v5, v62
	v_pk_add_f32 v[4:5], v[68:69], v[4:5] neg_lo:[0,1] neg_hi:[0,1]
	v_pk_add_f32 v[68:69], v[84:85], v[66:67]
	v_pk_add_f32 v[62:63], v[76:77], v[66:67] neg_lo:[0,1] neg_hi:[0,1]
	v_pk_mul_f32 v[66:67], v[50:51], s[22:23]
	v_pk_mul_f32 v[52:53], v[52:53], s[26:27]
	;; [unrolled: 1-line block ×4, first 2 shown]
	v_mov_b32_e32 v50, v76
	v_mov_b32_e32 v51, v67
	;; [unrolled: 1-line block ×4, first 2 shown]
	v_pk_fma_f32 v[50:51], v[4:5], s[30:31], v[50:51] op_sel_hi:[1,0,1] neg_lo:[1,0,1] neg_hi:[1,0,1]
	v_pk_fma_f32 v[56:57], v[62:63], s[28:29], v[56:57] op_sel_hi:[1,0,1] neg_lo:[1,0,1] neg_hi:[1,0,1]
	v_pk_add_f32 v[50:51], v[50:51], v[86:87]
	v_pk_fma_f32 v[56:57], v[68:69], s[18:19], v[56:57] op_sel_hi:[1,0,1]
	v_and_b32_e32 v21, 15, v27
	v_pk_add_f32 v[94:95], v[56:57], v[50:51]
	v_pk_add_f32 v[96:97], v[50:51], v[56:57] neg_lo:[0,1] neg_hi:[0,1]
	v_mov_b32_e32 v50, v95
	v_mov_b32_e32 v51, v96
	v_mul_f32_e32 v3, v97, v80
	v_pk_mul_f32 v[6:7], v[50:51], v[6:7] op_sel_hi:[1,0]
	v_fma_f32 v56, v94, v70, -v3
	v_mul_f32_e32 v57, v94, v80
	v_mov_b32_e32 v94, v96
	v_pk_fma_f32 v[80:81], v[94:95], v[2:3], v[6:7] op_sel_hi:[1,0,1]
	v_pk_fma_f32 v[50:51], v[96:97], v[2:3], v[6:7] neg_lo:[0,0,1] neg_hi:[0,0,1]
	s_waitcnt vmcnt(4)
	v_mul_f32_e32 v2, v72, v74
	v_fma_f32 v6, -v73, v75, v2
	v_pk_mul_f32 v[2:3], v[72:73], v[74:75] op_sel:[1,0] op_sel_hi:[0,1]
	v_pk_fma_f32 v[72:73], v[92:93], s[0:1], v[66:67]
	v_mov_b32_e32 v67, v77
	v_pk_fma_f32 v[74:75], v[82:83], s[20:21], v[52:53]
	v_mov_b32_e32 v53, v85
	v_pk_fma_f32 v[4:5], v[4:5], s[30:31], v[66:67] op_sel_hi:[1,0,1] neg_lo:[0,0,1] neg_hi:[0,0,1]
	v_pk_fma_f32 v[52:53], v[62:63], s[28:29], v[52:53] op_sel_hi:[1,0,1] neg_lo:[0,0,1] neg_hi:[0,0,1]
	v_pk_add_f32 v[4:5], v[4:5], v[86:87]
	v_pk_fma_f32 v[52:53], v[68:69], s[18:19], v[52:53] op_sel_hi:[1,0,1]
	v_add_f32_e32 v3, v2, v3
	s_waitcnt vmcnt(2)
	v_mul_f32_e32 v2, v6, v79
	v_pk_add_f32 v[76:77], v[4:5], v[52:53] neg_lo:[0,1] neg_hi:[0,1]
	v_pk_add_f32 v[4:5], v[4:5], v[52:53]
	v_fmac_f32_e32 v2, v78, v3
	v_mul_f32_e32 v3, v3, v79
	v_mov_b32_e32 v52, v5
	v_mov_b32_e32 v53, v76
	v_mul_f32_e32 v7, v77, v54
	v_fmac_f32_e32 v57, v97, v70
	v_fma_f32 v6, v78, v6, -v3
	v_pk_mul_f32 v[2:3], v[52:53], v[2:3] op_sel_hi:[1,0]
	v_fma_f32 v62, v4, v61, -v7
	v_mul_f32_e32 v63, v4, v54
	v_mov_b32_e32 v4, v76
	v_mul_lo_u32 v70, v28, v21
	v_pk_fma_f32 v[4:5], v[4:5], v[6:7], v[2:3] op_sel_hi:[1,0,1]
	v_pk_fma_f32 v[66:67], v[76:77], v[6:7], v[2:3] neg_lo:[0,0,1] neg_hi:[0,0,1]
	v_lshlrev_b32_sdwa v2, v1, v70 dst_sel:DWORD dst_unused:UNUSED_PAD src0_sel:DWORD src1_sel:BYTE_0
	v_lshlrev_b32_sdwa v3, v1, v70 dst_sel:DWORD dst_unused:UNUSED_PAD src0_sel:DWORD src1_sel:BYTE_1
	global_load_dwordx2 v[52:53], v2, s[16:17]
	global_load_dwordx2 v[54:55], v3, s[16:17] offset:2048
	v_pk_add_f32 v[6:7], v[72:73], v[86:87]
	v_cmp_gt_u32_e64 s[0:1], 38, v0
	v_mov_b32_e32 v19, v11
	v_mov_b32_e32 v13, v9
	;; [unrolled: 1-line block ×3, first 2 shown]
	v_fmac_f32_e32 v63, v77, v61
	v_mov_b32_e32 v61, v71
	v_mov_b32_e32 v51, v81
	s_waitcnt vmcnt(3)
	v_mul_f32_e32 v2, v64, v88
	v_fma_f32 v4, -v65, v89, v2
	v_pk_mul_f32 v[2:3], v[64:65], v[88:89] op_sel:[1,0] op_sel_hi:[0,1]
	v_pk_fma_f32 v[64:65], v[68:69], s[18:19], v[74:75] op_sel_hi:[1,0,1]
	v_add_f32_e32 v3, v2, v3
	v_pk_add_f32 v[68:69], v[64:65], v[6:7]
	v_pk_add_f32 v[6:7], v[6:7], v[64:65] neg_lo:[0,1] neg_hi:[0,1]
	s_waitcnt vmcnt(2)
	v_mul_f32_e32 v2, v4, v91
	v_mul_f32_e32 v0, v7, v10
	v_fmac_f32_e32 v2, v90, v3
	v_mul_f32_e32 v3, v3, v91
	v_fma_f32 v106, v68, v8, -v0
	v_mul_f32_e32 v107, v68, v10
	v_mov_b32_e32 v10, v69
	v_mov_b32_e32 v11, v6
	v_or_b32_e32 v68, 0x50, v21
	v_fma_f32 v4, v90, v4, -v3
	v_fmac_f32_e32 v107, v7, v8
	v_mov_b32_e32 v8, v6
	v_mov_b32_e32 v9, v69
	v_pk_mul_f32 v[2:3], v[10:11], v[2:3] op_sel_hi:[1,0]
	v_mul_lo_u32 v68, v28, v68
	v_pk_fma_f32 v[64:65], v[6:7], v[4:5], v[2:3] neg_lo:[0,0,1] neg_hi:[0,0,1]
	v_pk_fma_f32 v[2:3], v[8:9], v[4:5], v[2:3] op_sel_hi:[1,0,1]
	v_lshlrev_b32_sdwa v82, v1, v68 dst_sel:DWORD dst_unused:UNUSED_PAD src0_sel:DWORD src1_sel:BYTE_0
	v_lshlrev_b32_sdwa v83, v1, v68 dst_sel:DWORD dst_unused:UNUSED_PAD src0_sel:DWORD src1_sel:BYTE_1
	v_bfe_u32 v68, v68, 16, 8
	v_or_b32_e32 v2, 16, v21
	v_or_b32_e32 v5, 32, v21
	;; [unrolled: 1-line block ×4, first 2 shown]
	v_lshl_or_b32 v112, v68, 3, v20
	v_or_b32_e32 v68, 0x60, v21
	v_mul_lo_u32 v2, v28, v2
	v_mul_lo_u32 v5, v28, v5
	;; [unrolled: 1-line block ×5, first 2 shown]
	v_mov_b32_e32 v65, v3
	v_bfe_u32 v0, v70, 16, 8
	v_lshlrev_b32_sdwa v3, v1, v2 dst_sel:DWORD dst_unused:UNUSED_PAD src0_sel:DWORD src1_sel:BYTE_0
	v_lshlrev_b32_sdwa v4, v1, v2 dst_sel:DWORD dst_unused:UNUSED_PAD src0_sel:DWORD src1_sel:BYTE_1
	v_bfe_u32 v2, v2, 16, 8
	v_lshlrev_b32_sdwa v6, v1, v5 dst_sel:DWORD dst_unused:UNUSED_PAD src0_sel:DWORD src1_sel:BYTE_0
	v_lshlrev_b32_sdwa v7, v1, v5 dst_sel:DWORD dst_unused:UNUSED_PAD src0_sel:DWORD src1_sel:BYTE_1
	;; [unrolled: 3-line block ×5, first 2 shown]
	v_bfe_u32 v1, v68, 16, 8
	v_lshl_or_b32 v0, v0, 3, v20
	v_lshl_or_b32 v2, v2, 3, v20
	;; [unrolled: 1-line block ×6, first 2 shown]
	v_mul_u32_u24_e32 v1, 6, v21
	v_lshlrev_b32_e32 v21, 3, v1
	global_load_dwordx2 v[104:105], v0, s[16:17]
	global_load_dwordx2 v[100:101], v3, s[16:17]
	global_load_dwordx2 v[102:103], v4, s[16:17] offset:2048
	global_load_dwordx2 v[98:99], v2, s[16:17]
	global_load_dwordx2 v[94:95], v6, s[16:17]
	global_load_dwordx2 v[96:97], v7, s[16:17] offset:2048
	;; [unrolled: 3-line block ×5, first 2 shown]
                                        ; kill: killed $vgpr9
                                        ; kill: killed $vgpr7
                                        ; kill: killed $vgpr2
                                        ; kill: killed $vgpr6
                                        ; kill: killed $vgpr4
                                        ; kill: killed $vgpr0
                                        ; kill: killed $vgpr3
                                        ; kill: killed $vgpr83
                                        ; kill: killed $vgpr11
                                        ; kill: killed $vgpr82
                                        ; kill: killed $vgpr77
                                        ; kill: killed $vgpr8
                                        ; kill: killed $vgpr76
                                        ; kill: killed $vgpr10
                                        ; kill: killed $vgpr5
	global_load_dwordx2 v[86:87], v112, s[16:17]
	s_nop 0
	global_load_dwordx2 v[82:83], v113, s[16:17]
	global_load_dwordx2 v[84:85], v114, s[16:17] offset:2048
	global_load_dwordx2 v[76:77], v20, s[16:17]
	global_load_dwordx4 v[4:7], v21, s[14:15] offset:128
	global_load_dwordx4 v[0:3], v21, s[14:15] offset:112
	;; [unrolled: 1-line block ×3, first 2 shown]
	s_movk_i32 s18, 0x60
	s_cbranch_vccnz .LBB0_16
; %bb.15:
	v_mad_u64_u32 v[20:21], s[2:3], s4, v26, 0
	v_mov_b32_e32 v112, v21
	v_mad_u64_u32 v[112:113], s[2:3], s5, v26, v[112:113]
	v_mov_b32_e32 v21, v112
	;; [unrolled: 2-line block ×3, first 2 shown]
	v_mad_u64_u32 v[114:115], s[2:3], s9, v31, v[114:115]
	s_lshl_b64 s[2:3], s[6:7], 3
	s_add_u32 s2, s10, s2
	s_addc_u32 s3, s11, s3
	v_mov_b32_e32 v113, v114
	v_lshl_add_u64 v[20:21], v[20:21], 3, s[2:3]
	v_lshl_add_u64 v[112:113], v[112:113], 3, v[20:21]
	global_store_dwordx2 v[112:113], v[14:15], off
	v_mad_u64_u32 v[112:113], s[2:3], s8, v35, 0
	v_mov_b32_e32 v114, v113
	v_mad_u64_u32 v[114:115], s[2:3], s9, v35, v[114:115]
	v_mov_b32_e32 v113, v114
	v_lshl_add_u64 v[112:113], v[112:113], 3, v[20:21]
	global_store_dwordx2 v[112:113], v[16:17], off
	v_mad_u64_u32 v[112:113], s[2:3], s8, v47, 0
	v_mov_b32_e32 v114, v113
	v_mad_u64_u32 v[114:115], s[2:3], s9, v47, v[114:115]
	v_mov_b32_e32 v113, v114
	;; [unrolled: 6-line block ×6, first 2 shown]
	v_lshl_add_u64 v[112:113], v[112:113], 3, v[20:21]
	v_lshrrev_b32_e32 v109, 4, v30
	global_store_dwordx2 v[112:113], v[12:13], off
	v_mad_u64_u32 v[112:113], s[2:3], v109, s18, v[30:31]
	v_mad_u64_u32 v[114:115], s[2:3], s8, v112, 0
	v_mov_b32_e32 v116, v115
	v_mad_u64_u32 v[116:117], s[2:3], s9, v112, v[116:117]
	v_mov_b32_e32 v115, v116
	v_lshl_add_u64 v[114:115], v[114:115], 3, v[20:21]
	v_add_u32_e32 v109, 16, v112
	global_store_dwordx2 v[114:115], v[22:23], off
	v_mad_u64_u32 v[114:115], s[2:3], s8, v109, 0
	v_mov_b32_e32 v116, v115
	v_mad_u64_u32 v[116:117], s[2:3], s9, v109, v[116:117]
	v_mov_b32_e32 v115, v116
	v_lshl_add_u64 v[114:115], v[114:115], 3, v[20:21]
	v_add_u32_e32 v109, 32, v112
	global_store_dwordx2 v[114:115], v[106:107], off
	;; [unrolled: 7-line block ×5, first 2 shown]
	v_mad_u64_u32 v[114:115], s[2:3], s8, v109, 0
	v_mov_b32_e32 v116, v115
	v_mad_u64_u32 v[116:117], s[2:3], s9, v109, v[116:117]
	v_mov_b32_e32 v115, v116
	v_add_u32_e32 v109, 0x60, v112
	v_lshl_add_u64 v[114:115], v[114:115], 3, v[20:21]
	v_mad_u64_u32 v[112:113], s[2:3], s8, v109, 0
	global_store_dwordx2 v[114:115], v[50:51], off
	v_mov_b32_e32 v114, v113
	v_mad_u64_u32 v[114:115], s[2:3], s9, v109, v[114:115]
	v_mov_b32_e32 v113, v114
	v_lshl_add_u64 v[112:113], v[112:113], 3, v[20:21]
	s_and_b64 s[2:3], s[0:1], exec
	global_store_dwordx2 v[112:113], v[64:65], off
	s_cbranch_execz .LBB0_17
	s_branch .LBB0_20
.LBB0_16:
	s_mov_b64 s[2:3], 0
                                        ; implicit-def: $vgpr20_vgpr21
.LBB0_17:
	v_cmp_gt_u64_e32 vcc, s[12:13], v[28:29]
                                        ; implicit-def: $vgpr20_vgpr21
	s_and_saveexec_b64 s[12:13], vcc
	s_cbranch_execz .LBB0_19
; %bb.18:
	v_mad_u64_u32 v[20:21], s[14:15], s4, v26, 0
	v_mov_b32_e32 v28, v21
	v_mad_u64_u32 v[28:29], s[4:5], s5, v26, v[28:29]
	v_mov_b32_e32 v21, v28
	;; [unrolled: 2-line block ×3, first 2 shown]
	v_mad_u64_u32 v[112:113], s[4:5], s9, v31, v[26:27]
	s_lshl_b64 s[4:5], s[6:7], 3
	s_add_u32 s4, s10, s4
	s_addc_u32 s5, s11, s5
	v_mov_b32_e32 v29, v112
	v_lshl_add_u64 v[20:21], v[20:21], 3, s[4:5]
	v_lshl_add_u64 v[28:29], v[28:29], 3, v[20:21]
	global_store_dwordx2 v[28:29], v[14:15], off
	v_mad_u64_u32 v[14:15], s[4:5], s8, v35, 0
	v_mov_b32_e32 v26, v15
	v_mad_u64_u32 v[28:29], s[4:5], s9, v35, v[26:27]
	v_mov_b32_e32 v15, v28
	v_lshl_add_u64 v[14:15], v[14:15], 3, v[20:21]
	global_store_dwordx2 v[14:15], v[16:17], off
	v_mad_u64_u32 v[14:15], s[4:5], s8, v47, 0
	v_mov_b32_e32 v16, v15
	v_mad_u64_u32 v[16:17], s[4:5], s9, v47, v[16:17]
	v_mov_b32_e32 v15, v16
	;; [unrolled: 6-line block ×4, first 2 shown]
	v_lshl_add_u64 v[14:15], v[14:15], 3, v[20:21]
	v_or_b32_e32 v17, 0x50, v31
	global_store_dwordx2 v[14:15], v[58:59], off
	v_mad_u64_u32 v[14:15], s[4:5], s8, v17, 0
	v_mov_b32_e32 v16, v15
	v_mad_u64_u32 v[16:17], s[4:5], s9, v17, v[16:17]
	v_mov_b32_e32 v15, v16
	v_lshl_add_u64 v[14:15], v[14:15], 3, v[20:21]
	v_or_b32_e32 v17, 0x60, v31
	global_store_dwordx2 v[14:15], v[18:19], off
	v_mad_u64_u32 v[14:15], s[4:5], s8, v17, 0
	v_mov_b32_e32 v16, v15
	v_mad_u64_u32 v[16:17], s[4:5], s9, v17, v[16:17]
	v_mov_b32_e32 v15, v16
	v_lshl_add_u64 v[14:15], v[14:15], 3, v[20:21]
	s_movk_i32 s6, 0x60
	global_store_dwordx2 v[14:15], v[12:13], off
	v_lshrrev_b32_e32 v12, 4, v30
	v_mad_u64_u32 v[12:13], s[4:5], v12, s6, v[30:31]
	v_mad_u64_u32 v[14:15], s[4:5], s8, v12, 0
	v_mov_b32_e32 v16, v15
	v_mad_u64_u32 v[16:17], s[4:5], s9, v12, v[16:17]
	v_mov_b32_e32 v15, v16
	v_lshl_add_u64 v[14:15], v[14:15], 3, v[20:21]
	v_add_u32_e32 v13, 16, v12
	global_store_dwordx2 v[14:15], v[22:23], off
	v_mad_u64_u32 v[14:15], s[4:5], s8, v13, 0
	v_mov_b32_e32 v16, v15
	v_mad_u64_u32 v[16:17], s[4:5], s9, v13, v[16:17]
	v_mov_b32_e32 v15, v16
	v_lshl_add_u64 v[14:15], v[14:15], 3, v[20:21]
	v_add_u32_e32 v13, 32, v12
	global_store_dwordx2 v[14:15], v[106:107], off
	;; [unrolled: 7-line block ×5, first 2 shown]
	v_mad_u64_u32 v[14:15], s[4:5], s8, v13, 0
	v_mov_b32_e32 v16, v15
	v_mad_u64_u32 v[16:17], s[4:5], s9, v13, v[16:17]
	v_mov_b32_e32 v15, v16
	v_lshl_add_u64 v[14:15], v[14:15], 3, v[20:21]
	global_store_dwordx2 v[14:15], v[50:51], off
	v_add_u32_e32 v15, 0x60, v12
	v_mad_u64_u32 v[12:13], s[4:5], s8, v15, 0
	v_mov_b32_e32 v14, v13
	v_mad_u64_u32 v[14:15], s[4:5], s9, v15, v[14:15]
	v_mov_b32_e32 v13, v14
	s_andn2_b64 s[2:3], s[2:3], exec
	s_and_b64 s[0:1], s[0:1], exec
	v_lshl_add_u64 v[12:13], v[12:13], 3, v[20:21]
	s_or_b64 s[2:3], s[2:3], s[0:1]
	global_store_dwordx2 v[12:13], v[64:65], off
.LBB0_19:
	s_or_b64 exec, exec, s[12:13]
.LBB0_20:
	s_and_saveexec_b64 s[0:1], s[2:3]
	s_cbranch_execnz .LBB0_22
; %bb.21:
	s_endpgm
.LBB0_22:
	s_waitcnt vmcnt(2)
	v_mul_f32_e32 v19, v41, v5
	v_mul_f32_e32 v22, v52, v55
	v_fma_f32 v23, v40, v4, -v19
	v_mul_f32_e32 v19, v53, v55
	v_fmac_f32_e32 v22, v53, v54
	v_mul_f32_e32 v24, v48, v7
	v_fma_f32 v19, v52, v54, -v19
	v_mul_f32_e32 v25, v22, v105
	v_mov_b32_e32 v12, v49
	v_fmac_f32_e32 v24, v49, v6
	v_fma_f32 v49, v104, v19, -v25
	v_mul_f32_e32 v53, v19, v105
	v_mul_f32_e32 v19, v101, v103
	v_fmac_f32_e32 v53, v104, v22
	v_fma_f32 v19, v100, v102, -v19
	v_mul_f32_e32 v22, v100, v103
	v_fmac_f32_e32 v22, v101, v102
	v_mul_f32_e32 v57, v19, v99
	v_mul_f32_e32 v25, v22, v99
	v_fmac_f32_e32 v57, v98, v22
	v_mul_f32_e32 v22, v94, v97
	v_fma_f32 v56, v98, v19, -v25
	v_mul_f32_e32 v19, v95, v97
	v_fmac_f32_e32 v22, v95, v96
	s_waitcnt vmcnt(0)
	v_mul_f32_e32 v18, v42, v9
	v_fma_f32 v19, v94, v96, -v19
	v_mul_f32_e32 v25, v22, v93
	v_fmac_f32_e32 v18, v43, v8
	v_fma_f32 v58, v92, v19, -v25
	v_mul_f32_e32 v59, v19, v93
	v_mul_f32_e32 v19, v88, v90
	v_pk_mul_f32 v[42:43], v[88:89], v[90:91] op_sel:[1,0] op_sel_hi:[0,1]
	v_fmac_f32_e32 v59, v92, v22
	v_fma_f32 v19, -v89, v91, v19
	v_add_f32_e32 v22, v42, v43
	v_mul_f32_e32 v25, v22, v81
	v_mul_f32_e32 v30, v19, v81
	v_fma_f32 v26, v80, v19, -v25
	v_fmac_f32_e32 v30, v80, v22
	v_mul_f32_e32 v19, v75, v79
	v_mul_f32_e32 v22, v74, v79
	v_fma_f32 v19, v74, v78, -v19
	v_fmac_f32_e32 v22, v75, v78
	v_mul_f32_e32 v25, v22, v73
	v_mul_f32_e32 v61, v19, v73
	v_pk_mul_f32 v[42:43], v[68:69], v[70:71] op_sel:[1,0] op_sel_hi:[0,1]
	v_fma_f32 v60, v72, v19, -v25
	v_fmac_f32_e32 v61, v72, v22
	v_mul_f32_e32 v19, v68, v70
	v_add_f32_e32 v22, v42, v43
	v_fma_f32 v19, -v69, v71, v19
	v_mul_f32_e32 v25, v22, v87
	v_mov_b32_e32 v14, v48
	v_fma_f32 v42, v86, v19, -v25
	v_mul_f32_e32 v48, v19, v87
	v_mul_f32_e32 v19, v82, v84
	v_fma_f32 v19, -v83, v85, v19
	v_pk_mul_f32 v[50:51], v[82:83], v[84:85] op_sel:[1,0] op_sel_hi:[0,1]
	v_mov_b32_e32 v16, v11
	v_mov_b32_e32 v17, v0
	v_fmac_f32_e32 v48, v86, v22
	v_add_f32_e32 v22, v50, v51
	v_mul_f32_e32 v52, v19, v77
	v_mul_f32_e32 v11, v45, v11
	v_mov_b32_e32 v54, v44
	v_mov_b32_e32 v55, v46
	;; [unrolled: 1-line block ×3, first 2 shown]
	v_add_f32_e32 v29, v18, v24
	v_mul_f32_e32 v25, v22, v77
	v_fmac_f32_e32 v52, v76, v22
	v_fma_f32 v11, v44, v10, -v11
	v_pk_mul_f32 v[16:17], v[54:55], v[16:17]
	v_mov_b32_e32 v22, v37
	v_mov_b32_e32 v44, v37
	;; [unrolled: 1-line block ×5, first 2 shown]
	v_pk_fma_f32 v[54:55], v[22:23], v[28:29], v[16:17] op_sel:[0,0,1] op_sel_hi:[1,1,0] neg_lo:[1,0,0] neg_hi:[1,0,0]
	v_pk_fma_f32 v[16:17], v[44:45], v[46:47], v[16:17] op_sel:[0,0,1] op_sel_hi:[1,1,0]
	v_mov_b32_e32 v45, v0
	v_mov_b32_e32 v0, v9
	;; [unrolled: 1-line block ×3, first 2 shown]
	v_pk_mul_f32 v[0:1], v[34:35], v[0:1]
	v_mov_b32_e32 v34, v38
	v_pk_fma_f32 v[8:9], v[36:37], v[44:45], v[0:1] neg_lo:[0,0,1] neg_hi:[0,0,1]
	v_pk_fma_f32 v[0:1], v[36:37], v[44:45], v[0:1]
	v_mov_b32_e32 v37, v4
	v_mov_b32_e32 v44, v39
	;; [unrolled: 1-line block ×6, first 2 shown]
	v_pk_mul_f32 v[4:5], v[44:45], v[4:5]
	v_mov_b32_e32 v13, v38
	v_mov_b32_e32 v15, v39
	v_pk_fma_f32 v[38:39], v[38:39], v[2:3], v[4:5] op_sel_hi:[0,1,1] neg_lo:[0,0,1] neg_hi:[0,0,1]
	v_pk_fma_f32 v[4:5], v[34:35], v[36:37], v[4:5]
	v_mov_b32_e32 v35, v2
	v_mov_b32_e32 v2, v7
	;; [unrolled: 1-line block ×3, first 2 shown]
	v_pk_mul_f32 v[2:3], v[12:13], v[2:3]
	v_mov_b32_e32 v9, v1
	v_pk_fma_f32 v[6:7], v[14:15], v[34:35], v[2:3] neg_lo:[0,0,1] neg_hi:[0,0,1]
	v_pk_fma_f32 v[2:3], v[14:15], v[34:35], v[2:3]
	v_fma_f32 v50, v76, v19, -v25
	v_mov_b32_e32 v7, v3
	v_mov_b32_e32 v55, v17
	;; [unrolled: 1-line block ×7, first 2 shown]
	v_pk_add_f32 v[6:7], v[8:9], v[6:7]
	v_mov_b32_e32 v2, v3
	v_mov_b32_e32 v3, v38
	;; [unrolled: 1-line block ×4, first 2 shown]
	v_pk_add_f32 v[12:13], v[18:19], v[24:25] neg_lo:[0,1] neg_hi:[0,1]
	v_add_f32_e32 v0, v11, v23
	v_pk_add_f32 v[4:5], v[10:11], v[22:23] neg_lo:[0,1] neg_hi:[0,1]
	v_pk_add_f32 v[10:11], v[54:55], v[38:39]
	v_pk_add_f32 v[2:3], v[2:3], v[8:9] neg_lo:[0,1] neg_hi:[0,1]
	s_mov_b32 s6, 0x3eae86e6
	v_add_f32_e32 v8, v0, v6
	v_add_f32_e32 v15, v11, v29
	v_mov_b32_e32 v28, v10
	v_mov_b32_e32 v1, v7
	;; [unrolled: 1-line block ×8, first 2 shown]
	s_mov_b32 s2, 0x3d64c772
	s_mov_b32 s7, 0xbf08b237
	v_pk_add_f32 v[16:17], v[28:29], v[0:1] neg_lo:[0,1] neg_hi:[0,1]
	v_pk_add_f32 v[22:23], v[2:3], v[4:5]
	v_pk_add_f32 v[24:25], v[24:25], v[34:35] neg_lo:[0,1] neg_hi:[0,1]
	v_mov_b32_e32 v34, v12
	v_mov_b32_e32 v3, v5
	v_pk_add_f32 v[8:9], v[8:9], v[14:15]
	s_mov_b32 s3, 0x3f4a47b2
	s_mov_b32 s10, s7
	;; [unrolled: 1-line block ×3, first 2 shown]
	v_pk_add_f32 v[18:19], v[6:7], v[10:11] neg_lo:[0,1] neg_hi:[0,1]
	v_pk_add_f32 v[2:3], v[34:35], v[2:3] neg_lo:[0,1] neg_hi:[0,1]
	v_pk_add_f32 v[14:15], v[22:23], v[12:13]
	v_pk_add_f32 v[22:23], v[32:33], v[8:9]
	s_mov_b32 s0, 0xbf955555
	v_pk_mul_f32 v[16:17], v[16:17], s[2:3]
	s_mov_b32 s4, s3
	s_mov_b32 s5, s2
	v_pk_mul_f32 v[24:25], v[24:25], s[10:11]
	v_pk_mul_f32 v[32:33], v[18:19], s[4:5]
	s_mov_b32 s2, 0x3ee1c552
	v_pk_mul_f32 v[34:35], v[2:3], s[6:7]
	v_pk_fma_f32 v[8:9], v[8:9], s[0:1], v[22:23] op_sel_hi:[1,0,1]
	v_pk_fma_f32 v[18:19], v[18:19], s[4:5], v[16:17]
	v_pk_fma_f32 v[2:3], v[2:3], s[6:7], v[24:25]
	v_pk_add_f32 v[18:19], v[18:19], v[8:9]
	v_pk_fma_f32 v[2:3], v[14:15], s[2:3], v[2:3] op_sel_hi:[1,0,1]
	v_mul_f32_e32 v1, v23, v53
	v_pk_add_f32 v[36:37], v[2:3], v[18:19]
	v_pk_add_f32 v[2:3], v[18:19], v[2:3] neg_lo:[0,1] neg_hi:[0,1]
	v_fma_f32 v38, v22, v49, -v1
	v_mul_f32_e32 v1, v3, v57
	v_mul_f32_e32 v39, v22, v53
	v_fma_f32 v22, v36, v56, -v1
	v_mov_b32_e32 v1, v11
	v_mov_b32_e32 v7, v29
	v_pk_add_f32 v[0:1], v[0:1], v[6:7] neg_lo:[0,1] neg_hi:[0,1]
	v_pk_add_f32 v[4:5], v[4:5], v[12:13] neg_lo:[0,1] neg_hi:[0,1]
	s_mov_b32 s0, 0x3f3bfb3b
	s_mov_b32 s4, 0x3f5ff5aa
	v_mov_b32_e32 v6, v32
	v_mov_b32_e32 v7, v17
	v_mov_b32_e32 v10, v34
	v_mov_b32_e32 v11, v25
	v_pk_fma_f32 v[6:7], v[0:1], s[0:1], v[6:7] op_sel_hi:[1,0,1] neg_lo:[1,0,1] neg_hi:[1,0,1]
	v_pk_fma_f32 v[10:11], v[4:5], s[4:5], v[10:11] op_sel_hi:[1,0,1] neg_lo:[1,0,1] neg_hi:[1,0,1]
	v_pk_add_f32 v[6:7], v[6:7], v[8:9]
	v_pk_fma_f32 v[10:11], v[14:15], s[2:3], v[10:11] op_sel_hi:[1,0,1]
	v_mov_b32_e32 v25, v35
	v_pk_add_f32 v[12:13], v[10:11], v[6:7]
	v_pk_add_f32 v[6:7], v[6:7], v[10:11] neg_lo:[0,1] neg_hi:[0,1]
	v_pk_fma_f32 v[4:5], v[4:5], s[4:5], v[24:25] op_sel_hi:[1,0,1] neg_lo:[0,0,1] neg_hi:[0,0,1]
	v_mul_f32_e32 v17, v7, v59
	v_fma_f32 v28, v12, v58, -v17
	v_mov_b32_e32 v17, v33
	v_pk_fma_f32 v[0:1], v[0:1], s[0:1], v[16:17] op_sel_hi:[1,0,1] neg_lo:[0,0,1] neg_hi:[0,0,1]
	v_pk_fma_f32 v[4:5], v[14:15], s[2:3], v[4:5] op_sel_hi:[1,0,1]
	v_pk_add_f32 v[0:1], v[0:1], v[8:9]
	v_mov_b32_e32 v10, v6
	v_pk_add_f32 v[8:9], v[0:1], v[4:5] neg_lo:[0,1] neg_hi:[0,1]
	v_pk_add_f32 v[0:1], v[0:1], v[4:5]
	v_mov_b32_e32 v15, v8
	v_mov_b32_e32 v14, v1
	;; [unrolled: 1-line block ×4, first 2 shown]
	v_pk_mul_f32 v[14:15], v[14:15], v[30:31] op_sel_hi:[1,0]
	v_mul_f32_e32 v1, v9, v61
	v_pk_fma_f32 v[16:17], v[8:9], v[26:27], v[14:15] neg_lo:[0,0,1] neg_hi:[0,0,1]
	v_pk_fma_f32 v[4:5], v[4:5], v[26:27], v[14:15] op_sel_hi:[1,0,1]
	v_fma_f32 v14, v0, v60, -v1
	v_mul_f32_e32 v15, v0, v61
	v_mov_b32_e32 v0, v13
	v_mov_b32_e32 v1, v6
	;; [unrolled: 1-line block ×3, first 2 shown]
	v_mul_f32_e32 v29, v12, v59
	v_pk_mul_f32 v[0:1], v[0:1], v[48:49] op_sel_hi:[1,0]
	v_fmac_f32_e32 v29, v7, v58
	v_pk_fma_f32 v[6:7], v[6:7], v[42:43], v[0:1] neg_lo:[0,0,1] neg_hi:[0,0,1]
	v_pk_fma_f32 v[0:1], v[10:11], v[42:43], v[0:1] op_sel_hi:[1,0,1]
	v_mad_u64_u32 v[10:11], s[0:1], s8, v27, 0
	v_fmac_f32_e32 v15, v9, v60
	v_mov_b32_e32 v8, v37
	v_mov_b32_e32 v9, v2
	;; [unrolled: 1-line block ×3, first 2 shown]
	v_fmac_f32_e32 v39, v23, v49
	v_mul_f32_e32 v23, v36, v57
	v_pk_mul_f32 v[8:9], v[8:9], v[52:53] op_sel_hi:[1,0]
	v_mad_u64_u32 v[12:13], s[0:1], s9, v27, v[0:1]
	v_mov_b32_e32 v18, v2
	v_fmac_f32_e32 v23, v3, v56
	v_pk_fma_f32 v[2:3], v[2:3], v[50:51], v[8:9] neg_lo:[0,0,1] neg_hi:[0,0,1]
	v_mov_b32_e32 v11, v12
	v_lshl_add_u64 v[10:11], v[10:11], 3, v[20:21]
	v_add_u32_e32 v3, 30, v31
	global_store_dwordx2 v[10:11], v[38:39], off
	v_mad_u64_u32 v[10:11], s[0:1], s8, v3, 0
	v_mov_b32_e32 v0, v11
	v_mad_u64_u32 v[12:13], s[0:1], s9, v3, v[0:1]
	v_mov_b32_e32 v11, v12
	v_lshl_add_u64 v[10:11], v[10:11], 3, v[20:21]
	v_add_u32_e32 v3, 46, v31
	global_store_dwordx2 v[10:11], v[22:23], off
	v_mad_u64_u32 v[10:11], s[0:1], s8, v3, 0
	v_mov_b32_e32 v0, v11
	v_mad_u64_u32 v[12:13], s[0:1], s9, v3, v[0:1]
	;; [unrolled: 7-line block ×3, first 2 shown]
	v_add_u32_e32 v3, 0x4e, v31
	v_mov_b32_e32 v11, v12
	v_mov_b32_e32 v17, v5
	v_mad_u64_u32 v[4:5], s[0:1], s8, v3, 0
	v_lshl_add_u64 v[10:11], v[10:11], 3, v[20:21]
	v_mov_b32_e32 v0, v5
	global_store_dwordx2 v[10:11], v[16:17], off
	v_mad_u64_u32 v[10:11], s[0:1], s9, v3, v[0:1]
	v_mov_b32_e32 v5, v10
	v_lshl_add_u64 v[4:5], v[4:5], 3, v[20:21]
	v_add_u32_e32 v3, 0x5e, v31
	global_store_dwordx2 v[4:5], v[14:15], off
	v_mad_u64_u32 v[4:5], s[0:1], s8, v3, 0
	v_mov_b32_e32 v0, v5
	v_mad_u64_u32 v[10:11], s[0:1], s9, v3, v[0:1]
	v_mov_b32_e32 v5, v10
	v_add_u32_e32 v3, 0x6e, v31
	v_lshl_add_u64 v[4:5], v[4:5], 3, v[20:21]
	v_mov_b32_e32 v7, v1
	v_mad_u64_u32 v[0:1], s[0:1], s8, v3, 0
	global_store_dwordx2 v[4:5], v[6:7], off
	v_mov_b32_e32 v4, v1
	v_mov_b32_e32 v19, v37
	v_mad_u64_u32 v[4:5], s[0:1], s9, v3, v[4:5]
	v_pk_fma_f32 v[8:9], v[18:19], v[50:51], v[8:9] op_sel_hi:[1,0,1]
	v_mov_b32_e32 v1, v4
	v_lshl_add_u64 v[0:1], v[0:1], 3, v[20:21]
	v_mov_b32_e32 v3, v9
	global_store_dwordx2 v[0:1], v[2:3], off
	s_endpgm
	.section	.rodata,"a",@progbits
	.p2align	6, 0x0
	.amdhsa_kernel fft_rtc_fwd_len112_factors_4_4_7_wgs_133_tpt_7_dim2_sp_ip_CI_sbcc_twdbase8_3step_dirReg
		.amdhsa_group_segment_fixed_size 0
		.amdhsa_private_segment_fixed_size 0
		.amdhsa_kernarg_size 88
		.amdhsa_user_sgpr_count 2
		.amdhsa_user_sgpr_dispatch_ptr 0
		.amdhsa_user_sgpr_queue_ptr 0
		.amdhsa_user_sgpr_kernarg_segment_ptr 1
		.amdhsa_user_sgpr_dispatch_id 0
		.amdhsa_user_sgpr_kernarg_preload_length 0
		.amdhsa_user_sgpr_kernarg_preload_offset 0
		.amdhsa_user_sgpr_private_segment_size 0
		.amdhsa_uses_dynamic_stack 0
		.amdhsa_enable_private_segment 0
		.amdhsa_system_sgpr_workgroup_id_x 1
		.amdhsa_system_sgpr_workgroup_id_y 0
		.amdhsa_system_sgpr_workgroup_id_z 0
		.amdhsa_system_sgpr_workgroup_info 0
		.amdhsa_system_vgpr_workitem_id 0
		.amdhsa_next_free_vgpr 118
		.amdhsa_next_free_sgpr 32
		.amdhsa_accum_offset 120
		.amdhsa_reserve_vcc 1
		.amdhsa_float_round_mode_32 0
		.amdhsa_float_round_mode_16_64 0
		.amdhsa_float_denorm_mode_32 3
		.amdhsa_float_denorm_mode_16_64 3
		.amdhsa_dx10_clamp 1
		.amdhsa_ieee_mode 1
		.amdhsa_fp16_overflow 0
		.amdhsa_tg_split 0
		.amdhsa_exception_fp_ieee_invalid_op 0
		.amdhsa_exception_fp_denorm_src 0
		.amdhsa_exception_fp_ieee_div_zero 0
		.amdhsa_exception_fp_ieee_overflow 0
		.amdhsa_exception_fp_ieee_underflow 0
		.amdhsa_exception_fp_ieee_inexact 0
		.amdhsa_exception_int_div_zero 0
	.end_amdhsa_kernel
	.text
.Lfunc_end0:
	.size	fft_rtc_fwd_len112_factors_4_4_7_wgs_133_tpt_7_dim2_sp_ip_CI_sbcc_twdbase8_3step_dirReg, .Lfunc_end0-fft_rtc_fwd_len112_factors_4_4_7_wgs_133_tpt_7_dim2_sp_ip_CI_sbcc_twdbase8_3step_dirReg
                                        ; -- End function
	.section	.AMDGPU.csdata,"",@progbits
; Kernel info:
; codeLenInByte = 11424
; NumSgprs: 38
; NumVgprs: 118
; NumAgprs: 0
; TotalNumVgprs: 118
; ScratchSize: 0
; MemoryBound: 0
; FloatMode: 240
; IeeeMode: 1
; LDSByteSize: 0 bytes/workgroup (compile time only)
; SGPRBlocks: 4
; VGPRBlocks: 14
; NumSGPRsForWavesPerEU: 38
; NumVGPRsForWavesPerEU: 118
; AccumOffset: 120
; Occupancy: 4
; WaveLimiterHint : 1
; COMPUTE_PGM_RSRC2:SCRATCH_EN: 0
; COMPUTE_PGM_RSRC2:USER_SGPR: 2
; COMPUTE_PGM_RSRC2:TRAP_HANDLER: 0
; COMPUTE_PGM_RSRC2:TGID_X_EN: 1
; COMPUTE_PGM_RSRC2:TGID_Y_EN: 0
; COMPUTE_PGM_RSRC2:TGID_Z_EN: 0
; COMPUTE_PGM_RSRC2:TIDIG_COMP_CNT: 0
; COMPUTE_PGM_RSRC3_GFX90A:ACCUM_OFFSET: 29
; COMPUTE_PGM_RSRC3_GFX90A:TG_SPLIT: 0
	.text
	.p2alignl 6, 3212836864
	.fill 256, 4, 3212836864
	.type	__hip_cuid_d6c97227d45e717f,@object ; @__hip_cuid_d6c97227d45e717f
	.section	.bss,"aw",@nobits
	.globl	__hip_cuid_d6c97227d45e717f
__hip_cuid_d6c97227d45e717f:
	.byte	0                               ; 0x0
	.size	__hip_cuid_d6c97227d45e717f, 1

	.ident	"AMD clang version 19.0.0git (https://github.com/RadeonOpenCompute/llvm-project roc-6.4.0 25133 c7fe45cf4b819c5991fe208aaa96edf142730f1d)"
	.section	".note.GNU-stack","",@progbits
	.addrsig
	.addrsig_sym __hip_cuid_d6c97227d45e717f
	.amdgpu_metadata
---
amdhsa.kernels:
  - .agpr_count:     0
    .args:
      - .actual_access:  read_only
        .address_space:  global
        .offset:         0
        .size:           8
        .value_kind:     global_buffer
      - .address_space:  global
        .offset:         8
        .size:           8
        .value_kind:     global_buffer
      - .actual_access:  read_only
        .address_space:  global
        .offset:         16
        .size:           8
        .value_kind:     global_buffer
      - .actual_access:  read_only
        .address_space:  global
        .offset:         24
        .size:           8
        .value_kind:     global_buffer
      - .offset:         32
        .size:           8
        .value_kind:     by_value
      - .actual_access:  read_only
        .address_space:  global
        .offset:         40
        .size:           8
        .value_kind:     global_buffer
      - .actual_access:  read_only
        .address_space:  global
        .offset:         48
        .size:           8
        .value_kind:     global_buffer
      - .offset:         56
        .size:           4
        .value_kind:     by_value
      - .actual_access:  read_only
        .address_space:  global
        .offset:         64
        .size:           8
        .value_kind:     global_buffer
      - .actual_access:  read_only
        .address_space:  global
        .offset:         72
        .size:           8
        .value_kind:     global_buffer
      - .address_space:  global
        .offset:         80
        .size:           8
        .value_kind:     global_buffer
    .group_segment_fixed_size: 0
    .kernarg_segment_align: 8
    .kernarg_segment_size: 88
    .language:       OpenCL C
    .language_version:
      - 2
      - 0
    .max_flat_workgroup_size: 133
    .name:           fft_rtc_fwd_len112_factors_4_4_7_wgs_133_tpt_7_dim2_sp_ip_CI_sbcc_twdbase8_3step_dirReg
    .private_segment_fixed_size: 0
    .sgpr_count:     38
    .sgpr_spill_count: 0
    .symbol:         fft_rtc_fwd_len112_factors_4_4_7_wgs_133_tpt_7_dim2_sp_ip_CI_sbcc_twdbase8_3step_dirReg.kd
    .uniform_work_group_size: 1
    .uses_dynamic_stack: false
    .vgpr_count:     118
    .vgpr_spill_count: 0
    .wavefront_size: 64
amdhsa.target:   amdgcn-amd-amdhsa--gfx950
amdhsa.version:
  - 1
  - 2
...

	.end_amdgpu_metadata
